;; amdgpu-corpus repo=ROCm/rocFFT kind=compiled arch=gfx906 opt=O3
	.text
	.amdgcn_target "amdgcn-amd-amdhsa--gfx906"
	.amdhsa_code_object_version 6
	.protected	fft_rtc_fwd_len1890_factors_2_3_3_3_7_5_wgs_126_tpt_126_halfLds_half_ip_CI_unitstride_sbrr_C2R_dirReg ; -- Begin function fft_rtc_fwd_len1890_factors_2_3_3_3_7_5_wgs_126_tpt_126_halfLds_half_ip_CI_unitstride_sbrr_C2R_dirReg
	.globl	fft_rtc_fwd_len1890_factors_2_3_3_3_7_5_wgs_126_tpt_126_halfLds_half_ip_CI_unitstride_sbrr_C2R_dirReg
	.p2align	8
	.type	fft_rtc_fwd_len1890_factors_2_3_3_3_7_5_wgs_126_tpt_126_halfLds_half_ip_CI_unitstride_sbrr_C2R_dirReg,@function
fft_rtc_fwd_len1890_factors_2_3_3_3_7_5_wgs_126_tpt_126_halfLds_half_ip_CI_unitstride_sbrr_C2R_dirReg: ; @fft_rtc_fwd_len1890_factors_2_3_3_3_7_5_wgs_126_tpt_126_halfLds_half_ip_CI_unitstride_sbrr_C2R_dirReg
; %bb.0:
	s_load_dwordx2 s[2:3], s[4:5], 0x50
	s_load_dwordx4 s[8:11], s[4:5], 0x0
	s_load_dwordx2 s[12:13], s[4:5], 0x18
	v_mul_u32_u24_e32 v1, 0x209, v0
	v_add_u32_sdwa v5, s6, v1 dst_sel:DWORD dst_unused:UNUSED_PAD src0_sel:DWORD src1_sel:WORD_1
	v_mov_b32_e32 v3, 0
	s_waitcnt lgkmcnt(0)
	v_cmp_lt_u64_e64 s[0:1], s[10:11], 2
	v_mov_b32_e32 v1, 0
	v_mov_b32_e32 v6, v3
	s_and_b64 vcc, exec, s[0:1]
	v_mov_b32_e32 v2, 0
	s_cbranch_vccnz .LBB0_8
; %bb.1:
	s_load_dwordx2 s[0:1], s[4:5], 0x10
	s_add_u32 s6, s12, 8
	s_addc_u32 s7, s13, 0
	v_mov_b32_e32 v1, 0
	v_mov_b32_e32 v2, 0
	s_waitcnt lgkmcnt(0)
	s_add_u32 s14, s0, 8
	s_addc_u32 s15, s1, 0
	s_mov_b64 s[16:17], 1
.LBB0_2:                                ; =>This Inner Loop Header: Depth=1
	s_load_dwordx2 s[18:19], s[14:15], 0x0
                                        ; implicit-def: $vgpr7_vgpr8
	s_waitcnt lgkmcnt(0)
	v_or_b32_e32 v4, s19, v6
	v_cmp_ne_u64_e32 vcc, 0, v[3:4]
	s_and_saveexec_b64 s[0:1], vcc
	s_xor_b64 s[20:21], exec, s[0:1]
	s_cbranch_execz .LBB0_4
; %bb.3:                                ;   in Loop: Header=BB0_2 Depth=1
	v_cvt_f32_u32_e32 v4, s18
	v_cvt_f32_u32_e32 v7, s19
	s_sub_u32 s0, 0, s18
	s_subb_u32 s1, 0, s19
	v_mac_f32_e32 v4, 0x4f800000, v7
	v_rcp_f32_e32 v4, v4
	v_mul_f32_e32 v4, 0x5f7ffffc, v4
	v_mul_f32_e32 v7, 0x2f800000, v4
	v_trunc_f32_e32 v7, v7
	v_mac_f32_e32 v4, 0xcf800000, v7
	v_cvt_u32_f32_e32 v7, v7
	v_cvt_u32_f32_e32 v4, v4
	v_mul_lo_u32 v8, s0, v7
	v_mul_hi_u32 v9, s0, v4
	v_mul_lo_u32 v11, s1, v4
	v_mul_lo_u32 v10, s0, v4
	v_add_u32_e32 v8, v9, v8
	v_add_u32_e32 v8, v8, v11
	v_mul_hi_u32 v9, v4, v10
	v_mul_lo_u32 v11, v4, v8
	v_mul_hi_u32 v13, v4, v8
	v_mul_hi_u32 v12, v7, v10
	v_mul_lo_u32 v10, v7, v10
	v_mul_hi_u32 v14, v7, v8
	v_add_co_u32_e32 v9, vcc, v9, v11
	v_addc_co_u32_e32 v11, vcc, 0, v13, vcc
	v_mul_lo_u32 v8, v7, v8
	v_add_co_u32_e32 v9, vcc, v9, v10
	v_addc_co_u32_e32 v9, vcc, v11, v12, vcc
	v_addc_co_u32_e32 v10, vcc, 0, v14, vcc
	v_add_co_u32_e32 v8, vcc, v9, v8
	v_addc_co_u32_e32 v9, vcc, 0, v10, vcc
	v_add_co_u32_e32 v4, vcc, v4, v8
	v_addc_co_u32_e32 v7, vcc, v7, v9, vcc
	v_mul_lo_u32 v8, s0, v7
	v_mul_hi_u32 v9, s0, v4
	v_mul_lo_u32 v10, s1, v4
	v_mul_lo_u32 v11, s0, v4
	v_add_u32_e32 v8, v9, v8
	v_add_u32_e32 v8, v8, v10
	v_mul_lo_u32 v12, v4, v8
	v_mul_hi_u32 v13, v4, v11
	v_mul_hi_u32 v14, v4, v8
	;; [unrolled: 1-line block ×3, first 2 shown]
	v_mul_lo_u32 v11, v7, v11
	v_mul_hi_u32 v9, v7, v8
	v_add_co_u32_e32 v12, vcc, v13, v12
	v_addc_co_u32_e32 v13, vcc, 0, v14, vcc
	v_mul_lo_u32 v8, v7, v8
	v_add_co_u32_e32 v11, vcc, v12, v11
	v_addc_co_u32_e32 v10, vcc, v13, v10, vcc
	v_addc_co_u32_e32 v9, vcc, 0, v9, vcc
	v_add_co_u32_e32 v8, vcc, v10, v8
	v_addc_co_u32_e32 v9, vcc, 0, v9, vcc
	v_add_co_u32_e32 v4, vcc, v4, v8
	v_addc_co_u32_e32 v9, vcc, v7, v9, vcc
	v_mad_u64_u32 v[7:8], s[0:1], v5, v9, 0
	v_mul_hi_u32 v10, v5, v4
	v_add_co_u32_e32 v11, vcc, v10, v7
	v_addc_co_u32_e32 v12, vcc, 0, v8, vcc
	v_mad_u64_u32 v[7:8], s[0:1], v6, v4, 0
	v_mad_u64_u32 v[9:10], s[0:1], v6, v9, 0
	v_add_co_u32_e32 v4, vcc, v11, v7
	v_addc_co_u32_e32 v4, vcc, v12, v8, vcc
	v_addc_co_u32_e32 v7, vcc, 0, v10, vcc
	v_add_co_u32_e32 v4, vcc, v4, v9
	v_addc_co_u32_e32 v9, vcc, 0, v7, vcc
	v_mul_lo_u32 v10, s19, v4
	v_mul_lo_u32 v11, s18, v9
	v_mad_u64_u32 v[7:8], s[0:1], s18, v4, 0
	v_add3_u32 v8, v8, v11, v10
	v_sub_u32_e32 v10, v6, v8
	v_mov_b32_e32 v11, s19
	v_sub_co_u32_e32 v7, vcc, v5, v7
	v_subb_co_u32_e64 v10, s[0:1], v10, v11, vcc
	v_subrev_co_u32_e64 v11, s[0:1], s18, v7
	v_subbrev_co_u32_e64 v10, s[0:1], 0, v10, s[0:1]
	v_cmp_le_u32_e64 s[0:1], s19, v10
	v_cndmask_b32_e64 v12, 0, -1, s[0:1]
	v_cmp_le_u32_e64 s[0:1], s18, v11
	v_cndmask_b32_e64 v11, 0, -1, s[0:1]
	v_cmp_eq_u32_e64 s[0:1], s19, v10
	v_cndmask_b32_e64 v10, v12, v11, s[0:1]
	v_add_co_u32_e64 v11, s[0:1], 2, v4
	v_addc_co_u32_e64 v12, s[0:1], 0, v9, s[0:1]
	v_add_co_u32_e64 v13, s[0:1], 1, v4
	v_addc_co_u32_e64 v14, s[0:1], 0, v9, s[0:1]
	v_subb_co_u32_e32 v8, vcc, v6, v8, vcc
	v_cmp_ne_u32_e64 s[0:1], 0, v10
	v_cmp_le_u32_e32 vcc, s19, v8
	v_cndmask_b32_e64 v10, v14, v12, s[0:1]
	v_cndmask_b32_e64 v12, 0, -1, vcc
	v_cmp_le_u32_e32 vcc, s18, v7
	v_cndmask_b32_e64 v7, 0, -1, vcc
	v_cmp_eq_u32_e32 vcc, s19, v8
	v_cndmask_b32_e32 v7, v12, v7, vcc
	v_cmp_ne_u32_e32 vcc, 0, v7
	v_cndmask_b32_e64 v7, v13, v11, s[0:1]
	v_cndmask_b32_e32 v8, v9, v10, vcc
	v_cndmask_b32_e32 v7, v4, v7, vcc
.LBB0_4:                                ;   in Loop: Header=BB0_2 Depth=1
	s_andn2_saveexec_b64 s[0:1], s[20:21]
	s_cbranch_execz .LBB0_6
; %bb.5:                                ;   in Loop: Header=BB0_2 Depth=1
	v_cvt_f32_u32_e32 v4, s18
	s_sub_i32 s20, 0, s18
	v_rcp_iflag_f32_e32 v4, v4
	v_mul_f32_e32 v4, 0x4f7ffffe, v4
	v_cvt_u32_f32_e32 v4, v4
	v_mul_lo_u32 v7, s20, v4
	v_mul_hi_u32 v7, v4, v7
	v_add_u32_e32 v4, v4, v7
	v_mul_hi_u32 v4, v5, v4
	v_mul_lo_u32 v7, v4, s18
	v_add_u32_e32 v8, 1, v4
	v_sub_u32_e32 v7, v5, v7
	v_subrev_u32_e32 v9, s18, v7
	v_cmp_le_u32_e32 vcc, s18, v7
	v_cndmask_b32_e32 v7, v7, v9, vcc
	v_cndmask_b32_e32 v4, v4, v8, vcc
	v_add_u32_e32 v8, 1, v4
	v_cmp_le_u32_e32 vcc, s18, v7
	v_cndmask_b32_e32 v7, v4, v8, vcc
	v_mov_b32_e32 v8, v3
.LBB0_6:                                ;   in Loop: Header=BB0_2 Depth=1
	s_or_b64 exec, exec, s[0:1]
	v_mul_lo_u32 v4, v8, s18
	v_mul_lo_u32 v11, v7, s19
	v_mad_u64_u32 v[9:10], s[0:1], v7, s18, 0
	s_load_dwordx2 s[0:1], s[6:7], 0x0
	s_add_u32 s16, s16, 1
	v_add3_u32 v4, v10, v11, v4
	v_sub_co_u32_e32 v5, vcc, v5, v9
	v_subb_co_u32_e32 v4, vcc, v6, v4, vcc
	s_waitcnt lgkmcnt(0)
	v_mul_lo_u32 v4, s0, v4
	v_mul_lo_u32 v6, s1, v5
	v_mad_u64_u32 v[1:2], s[0:1], s0, v5, v[1:2]
	s_addc_u32 s17, s17, 0
	s_add_u32 s6, s6, 8
	v_add3_u32 v2, v6, v2, v4
	v_mov_b32_e32 v4, s10
	v_mov_b32_e32 v5, s11
	s_addc_u32 s7, s7, 0
	v_cmp_ge_u64_e32 vcc, s[16:17], v[4:5]
	s_add_u32 s14, s14, 8
	s_addc_u32 s15, s15, 0
	s_cbranch_vccnz .LBB0_9
; %bb.7:                                ;   in Loop: Header=BB0_2 Depth=1
	v_mov_b32_e32 v5, v7
	v_mov_b32_e32 v6, v8
	s_branch .LBB0_2
.LBB0_8:
	v_mov_b32_e32 v8, v6
	v_mov_b32_e32 v7, v5
.LBB0_9:
	s_lshl_b64 s[0:1], s[10:11], 3
	s_add_u32 s0, s12, s0
	s_addc_u32 s1, s13, s1
	s_load_dwordx2 s[6:7], s[0:1], 0x0
	s_load_dwordx2 s[10:11], s[4:5], 0x20
	s_waitcnt lgkmcnt(0)
	v_mad_u64_u32 v[1:2], s[0:1], s6, v7, v[1:2]
	v_mul_lo_u32 v3, s6, v8
	v_mul_lo_u32 v4, s7, v7
	s_mov_b32 s0, 0x2082083
	v_mul_hi_u32 v5, v0, s0
	v_cmp_gt_u64_e64 s[0:1], s[10:11], v[7:8]
	v_add3_u32 v2, v4, v2, v3
	v_mul_u32_u24_e32 v3, 0x7e, v5
	v_lshlrev_b64 v[4:5], 2, v[1:2]
	v_sub_u32_e32 v0, v0, v3
	s_and_saveexec_b64 s[4:5], s[0:1]
	s_cbranch_execz .LBB0_13
; %bb.10:
	v_mov_b32_e32 v1, 0
	v_mov_b32_e32 v2, s3
	v_add_co_u32_e32 v3, vcc, s2, v4
	v_lshlrev_b64 v[6:7], 2, v[0:1]
	v_addc_co_u32_e32 v2, vcc, v2, v5, vcc
	v_add_co_u32_e32 v6, vcc, v3, v6
	v_addc_co_u32_e32 v7, vcc, v2, v7, vcc
	s_movk_i32 s6, 0x1000
	v_add_co_u32_e32 v8, vcc, s6, v6
	global_load_dword v10, v[6:7], off
	global_load_dword v11, v[6:7], off offset:504
	global_load_dword v12, v[6:7], off offset:1008
	;; [unrolled: 1-line block ×7, first 2 shown]
	v_addc_co_u32_e32 v9, vcc, 0, v7, vcc
	global_load_dword v18, v[6:7], off offset:4032
	global_load_dword v19, v[8:9], off offset:440
	;; [unrolled: 1-line block ×7, first 2 shown]
	s_movk_i32 s6, 0x7d
	v_lshl_add_u32 v6, v0, 2, 0
	v_cmp_eq_u32_e32 vcc, s6, v0
	v_add_u32_e32 v7, 0x200, v6
	v_add_u32_e32 v8, 0x600, v6
	v_add_u32_e32 v9, 0xa00, v6
	v_add_u32_e32 v25, 0xe00, v6
	v_add_u32_e32 v26, 0x1200, v6
	v_add_u32_e32 v27, 0x1600, v6
	s_waitcnt vmcnt(13)
	ds_write2_b32 v6, v10, v11 offset1:126
	s_waitcnt vmcnt(11)
	ds_write2_b32 v7, v12, v13 offset0:124 offset1:250
	s_waitcnt vmcnt(9)
	ds_write2_b32 v8, v14, v15 offset0:120 offset1:246
	;; [unrolled: 2-line block ×6, first 2 shown]
	s_waitcnt vmcnt(0)
	ds_write_b32 v6, v24 offset:7056
	s_and_saveexec_b64 s[6:7], vcc
	s_cbranch_execz .LBB0_12
; %bb.11:
	v_add_co_u32_e32 v6, vcc, 0x1000, v3
	v_addc_co_u32_e32 v7, vcc, 0, v2, vcc
	global_load_dword v0, v[6:7], off offset:3464
	s_waitcnt vmcnt(0)
	ds_write_b32 v1, v0 offset:7560
	v_mov_b32_e32 v0, 0x7d
.LBB0_12:
	s_or_b64 exec, exec, s[6:7]
.LBB0_13:
	s_or_b64 exec, exec, s[4:5]
	v_lshlrev_b32_e32 v2, 2, v0
	v_add_u32_e32 v20, 0, v2
	s_waitcnt lgkmcnt(0)
	s_barrier
	v_sub_u32_e32 v3, 0, v2
	ds_read_u16 v10, v20
	ds_read_u16 v11, v3 offset:7560
	s_add_u32 s6, s8, 0x1d80
	s_addc_u32 s7, s9, 0
	v_cmp_ne_u32_e32 vcc, 0, v0
                                        ; implicit-def: $vgpr6_vgpr7
	s_waitcnt lgkmcnt(0)
	v_add_f16_e32 v8, v11, v10
	v_sub_f16_e32 v9, v10, v11
	s_and_saveexec_b64 s[4:5], vcc
	s_xor_b64 s[4:5], exec, s[4:5]
	s_cbranch_execz .LBB0_15
; %bb.14:
	v_mov_b32_e32 v1, 0
	v_lshlrev_b64 v[6:7], 2, v[0:1]
	v_mov_b32_e32 v8, s7
	v_add_co_u32_e32 v6, vcc, s6, v6
	v_addc_co_u32_e32 v7, vcc, v8, v7, vcc
	global_load_dword v6, v[6:7], off
	ds_read_u16 v7, v3 offset:7562
	ds_read_u16 v8, v20 offset:2
	v_add_f16_e32 v9, v11, v10
	v_sub_f16_e32 v10, v10, v11
	s_waitcnt lgkmcnt(0)
	v_add_f16_e32 v11, v7, v8
	v_sub_f16_e32 v7, v8, v7
	s_waitcnt vmcnt(0)
	v_lshrrev_b32_e32 v8, 16, v6
	v_fma_f16 v12, v10, v8, v9
	v_fma_f16 v13, v11, v8, v7
	v_fma_f16 v14, -v10, v8, v9
	v_fma_f16 v7, v11, v8, -v7
	v_fma_f16 v8, -v6, v11, v12
	v_fma_f16 v9, v10, v6, v13
	v_fma_f16 v11, v6, v11, v14
	;; [unrolled: 1-line block ×3, first 2 shown]
	v_pack_b32_f16 v6, v11, v6
	ds_write_b32 v3, v6 offset:7560
	v_mov_b32_e32 v7, v1
	v_mov_b32_e32 v6, v0
.LBB0_15:
	s_andn2_saveexec_b64 s[4:5], s[4:5]
	s_cbranch_execz .LBB0_17
; %bb.16:
	v_mov_b32_e32 v1, 0
	ds_read_b32 v6, v1 offset:3780
	s_mov_b32 s10, 0xc0004000
	s_waitcnt lgkmcnt(0)
	v_pk_mul_f16 v10, v6, s10
	v_mov_b32_e32 v6, 0
	v_mov_b32_e32 v7, 0
	ds_write_b32 v1, v10 offset:3780
.LBB0_17:
	s_or_b64 exec, exec, s[4:5]
	v_lshlrev_b64 v[6:7], 2, v[6:7]
	v_mov_b32_e32 v1, s7
	v_add_co_u32_e32 v6, vcc, s6, v6
	v_addc_co_u32_e32 v7, vcc, v1, v7, vcc
	global_load_dword v1, v[6:7], off offset:504
	global_load_dword v10, v[6:7], off offset:1008
	;; [unrolled: 1-line block ×4, first 2 shown]
	s_mov_b32 s4, 0x5040100
	v_perm_b32 v8, v9, v8, s4
	ds_write_b32 v20, v8
	ds_read_b32 v8, v20 offset:504
	ds_read_b32 v9, v3 offset:7056
	global_load_dword v13, v[6:7], off offset:2520
	global_load_dword v14, v[6:7], off offset:3024
	v_cmp_gt_u32_e32 vcc, 63, v0
	s_waitcnt lgkmcnt(0)
	v_add_f16_e32 v15, v8, v9
	v_add_f16_sdwa v16, v9, v8 dst_sel:DWORD dst_unused:UNUSED_PAD src0_sel:WORD_1 src1_sel:WORD_1
	v_sub_f16_e32 v17, v8, v9
	v_sub_f16_sdwa v8, v8, v9 dst_sel:DWORD dst_unused:UNUSED_PAD src0_sel:WORD_1 src1_sel:WORD_1
	s_waitcnt vmcnt(5)
	v_lshrrev_b32_e32 v9, 16, v1
	v_fma_f16 v18, v17, v9, v15
	v_fma_f16 v19, v16, v9, v8
	v_fma_f16 v15, -v17, v9, v15
	v_fma_f16 v8, v16, v9, -v8
	v_fma_f16 v9, -v1, v16, v18
	v_fma_f16 v18, v17, v1, v19
	v_fma_f16 v15, v1, v16, v15
	v_fma_f16 v1, v17, v1, v8
	v_pack_b32_f16 v8, v9, v18
	v_pack_b32_f16 v1, v15, v1
	ds_write_b32 v20, v8 offset:504
	ds_write_b32 v3, v1 offset:7056
	ds_read_b32 v1, v20 offset:1008
	ds_read_b32 v8, v3 offset:6552
	s_waitcnt vmcnt(4)
	v_lshrrev_b32_e32 v9, 16, v10
	s_waitcnt lgkmcnt(0)
	v_add_f16_e32 v15, v1, v8
	v_add_f16_sdwa v16, v8, v1 dst_sel:DWORD dst_unused:UNUSED_PAD src0_sel:WORD_1 src1_sel:WORD_1
	v_sub_f16_e32 v17, v1, v8
	v_sub_f16_sdwa v1, v1, v8 dst_sel:DWORD dst_unused:UNUSED_PAD src0_sel:WORD_1 src1_sel:WORD_1
	v_fma_f16 v8, v17, v9, v15
	v_fma_f16 v18, v16, v9, v1
	v_fma_f16 v15, -v17, v9, v15
	v_fma_f16 v1, v16, v9, -v1
	v_fma_f16 v8, -v10, v16, v8
	v_fma_f16 v9, v17, v10, v18
	v_fma_f16 v15, v10, v16, v15
	v_fma_f16 v1, v17, v10, v1
	v_pack_b32_f16 v8, v8, v9
	v_pack_b32_f16 v1, v15, v1
	ds_write_b32 v20, v8 offset:1008
	ds_write_b32 v3, v1 offset:6552
	ds_read_b32 v1, v20 offset:1512
	ds_read_b32 v8, v3 offset:6048
	s_waitcnt vmcnt(3)
	v_lshrrev_b32_e32 v9, 16, v11
	s_waitcnt lgkmcnt(0)
	v_add_f16_e32 v10, v1, v8
	v_add_f16_sdwa v15, v8, v1 dst_sel:DWORD dst_unused:UNUSED_PAD src0_sel:WORD_1 src1_sel:WORD_1
	v_sub_f16_e32 v16, v1, v8
	v_sub_f16_sdwa v1, v1, v8 dst_sel:DWORD dst_unused:UNUSED_PAD src0_sel:WORD_1 src1_sel:WORD_1
	;; [unrolled: 21-line block ×5, first 2 shown]
	v_fma_f16 v8, v12, v9, v10
	v_fma_f16 v13, v11, v9, v1
	v_fma_f16 v10, -v12, v9, v10
	v_fma_f16 v1, v11, v9, -v1
	v_fma_f16 v8, -v14, v11, v8
	v_fma_f16 v9, v12, v14, v13
	v_fma_f16 v10, v14, v11, v10
	;; [unrolled: 1-line block ×3, first 2 shown]
	v_pack_b32_f16 v8, v8, v9
	v_pack_b32_f16 v1, v10, v1
	ds_write_b32 v20, v8 offset:3024
	ds_write_b32 v3, v1 offset:4536
	s_and_saveexec_b64 s[4:5], vcc
	s_cbranch_execz .LBB0_19
; %bb.18:
	global_load_dword v1, v[6:7], off offset:3528
	ds_read_b32 v6, v20 offset:3528
	ds_read_b32 v7, v3 offset:4032
	s_waitcnt lgkmcnt(0)
	v_add_f16_e32 v8, v6, v7
	v_add_f16_sdwa v9, v7, v6 dst_sel:DWORD dst_unused:UNUSED_PAD src0_sel:WORD_1 src1_sel:WORD_1
	v_sub_f16_e32 v10, v6, v7
	v_sub_f16_sdwa v6, v6, v7 dst_sel:DWORD dst_unused:UNUSED_PAD src0_sel:WORD_1 src1_sel:WORD_1
	s_waitcnt vmcnt(0)
	v_lshrrev_b32_e32 v7, 16, v1
	v_fma_f16 v11, v10, v7, v8
	v_fma_f16 v12, v9, v7, v6
	v_fma_f16 v8, -v10, v7, v8
	v_fma_f16 v6, v9, v7, -v6
	v_fma_f16 v7, -v1, v9, v11
	v_fma_f16 v11, v10, v1, v12
	v_fma_f16 v8, v1, v9, v8
	;; [unrolled: 1-line block ×3, first 2 shown]
	v_pack_b32_f16 v6, v7, v11
	v_pack_b32_f16 v1, v8, v1
	ds_write_b32 v20, v6 offset:3528
	ds_write_b32 v3, v1 offset:4032
.LBB0_19:
	s_or_b64 exec, exec, s[4:5]
	v_add_u32_e32 v12, 0xe00, v20
	s_waitcnt lgkmcnt(0)
	s_barrier
	s_barrier
	ds_read2_b32 v[14:15], v20 offset1:126
	ds_read2_b32 v[18:19], v12 offset0:49 offset1:175
	v_add_u32_e32 v8, 0x200, v20
	v_add_u32_e32 v11, 0x1200, v20
	ds_read2_b32 v[22:23], v8 offset0:124 offset1:250
	ds_read2_b32 v[24:25], v11 offset0:45 offset1:171
	v_add_u32_e32 v10, 0xa00, v20
	v_add_u32_e32 v1, 0x1a00, v20
	s_waitcnt lgkmcnt(2)
	v_pk_add_f16 v3, v14, v18 neg_lo:[0,1] neg_hi:[0,1]
	ds_read2_b32 v[6:7], v10 offset0:116 offset1:242
	ds_read2_b32 v[16:17], v1 offset0:37 offset1:163
	v_add_u32_e32 v1, v20, v2
	v_add_u32_e32 v9, 0x600, v20
	;; [unrolled: 1-line block ×3, first 2 shown]
	v_pk_fma_f16 v14, v14, 2.0, v3 op_sel_hi:[1,0,1] neg_lo:[0,0,1] neg_hi:[0,0,1]
	ds_read2_b32 v[26:27], v9 offset0:120 offset1:246
	ds_read2_b32 v[28:29], v13 offset0:41 offset1:167
	s_waitcnt lgkmcnt(0)
	s_barrier
	ds_write2_b32 v1, v14, v3 offset1:1
	v_add_u32_e32 v21, 0x7e, v0
	v_pk_add_f16 v3, v15, v19 neg_lo:[0,1] neg_hi:[0,1]
	v_pk_fma_f16 v14, v15, 2.0, v3 op_sel_hi:[1,0,1] neg_lo:[0,0,1] neg_hi:[0,0,1]
	v_lshl_add_u32 v15, v21, 3, 0
	v_add_u32_e32 v1, 0xfc, v0
	ds_write2_b32 v15, v14, v3 offset1:1
	v_pk_add_f16 v14, v22, v24 neg_lo:[0,1] neg_hi:[0,1]
	v_lshl_add_u32 v3, v1, 3, 0
	v_pk_fma_f16 v15, v22, 2.0, v14 op_sel_hi:[1,0,1] neg_lo:[0,0,1] neg_hi:[0,0,1]
	ds_write2_b32 v3, v15, v14 offset1:1
	v_add_u32_e32 v14, 0x17a, v0
	v_pk_add_f16 v3, v7, v17 neg_lo:[0,1] neg_hi:[0,1]
	v_pk_add_f16 v17, v23, v25 neg_lo:[0,1] neg_hi:[0,1]
	v_lshl_add_u32 v18, v14, 3, 0
	v_pk_fma_f16 v19, v23, 2.0, v17 op_sel_hi:[1,0,1] neg_lo:[0,0,1] neg_hi:[0,0,1]
	v_add_u32_e32 v15, 0x1f8, v0
	ds_write2_b32 v18, v19, v17 offset1:1
	v_pk_add_f16 v17, v26, v28 neg_lo:[0,1] neg_hi:[0,1]
	v_lshl_add_u32 v22, v15, 3, 0
	v_pk_fma_f16 v18, v26, 2.0, v17 op_sel_hi:[1,0,1] neg_lo:[0,0,1] neg_hi:[0,0,1]
	v_lshl_add_u32 v19, v0, 3, 0
	v_pk_add_f16 v23, v27, v29 neg_lo:[0,1] neg_hi:[0,1]
	v_pk_add_f16 v16, v6, v16 neg_lo:[0,1] neg_hi:[0,1]
	v_add_u32_e32 v24, 0x13b0, v19
	v_pk_fma_f16 v25, v27, 2.0, v23 op_sel_hi:[1,0,1] neg_lo:[0,0,1] neg_hi:[0,0,1]
	v_add_u32_e32 v19, 0x17a0, v19
	v_pk_fma_f16 v6, v6, 2.0, v16 op_sel_hi:[1,0,1] neg_lo:[0,0,1] neg_hi:[0,0,1]
	ds_write2_b32 v22, v18, v17 offset1:1
	ds_write2_b32 v24, v25, v23 offset1:1
	ds_write2_b32 v19, v6, v16 offset1:1
	s_and_saveexec_b64 s[4:5], vcc
	s_cbranch_execz .LBB0_21
; %bb.20:
	s_movk_i32 s6, 0x1b90
	v_pk_fma_f16 v6, v7, 2.0, v3 op_sel_hi:[1,0,1] neg_lo:[0,0,1] neg_hi:[0,0,1]
	v_add3_u32 v7, v20, v2, s6
	ds_write2_b32 v7, v6, v3 offset1:1
.LBB0_21:
	s_or_b64 exec, exec, s[4:5]
	v_and_b32_e32 v32, 1, v0
	v_lshlrev_b32_e32 v6, 3, v32
	s_waitcnt lgkmcnt(0)
	s_barrier
	global_load_dwordx2 v[6:7], v6, s[8:9]
	ds_read2_b32 v[16:17], v11 offset0:108 offset1:234
	ds_read2_b32 v[18:19], v10 offset0:116 offset1:242
	;; [unrolled: 1-line block ×4, first 2 shown]
	ds_read_u16 v33, v20 offset:6050
	ds_read_b32 v34, v20 offset:7056
	ds_read2_b32 v[26:27], v9 offset0:120 offset1:246
	ds_read2_b32 v[28:29], v20 offset1:126
	s_waitcnt lgkmcnt(7)
	v_lshrrev_b32_e32 v36, 16, v16
	s_waitcnt lgkmcnt(6)
	v_lshrrev_b32_e32 v37, 16, v18
	v_lshrrev_b32_e32 v38, 16, v17
	;; [unrolled: 1-line block ×3, first 2 shown]
	s_waitcnt lgkmcnt(5)
	v_lshrrev_b32_e32 v40, 16, v23
	s_waitcnt lgkmcnt(4)
	v_lshrrev_b32_e32 v41, 16, v24
	v_lshrrev_b32_e32 v42, 16, v25
	s_waitcnt lgkmcnt(2)
	v_lshrrev_b32_e32 v43, 16, v34
	s_waitcnt lgkmcnt(1)
	v_lshrrev_b32_e32 v44, 16, v27
	s_waitcnt lgkmcnt(0)
	v_lshrrev_b32_e32 v45, 16, v28
	v_lshrrev_b32_e32 v35, 1, v0
	s_movk_i32 s4, 0x3aee
	s_mov_b32 s5, 0xbaee
	v_mul_u32_u24_e32 v35, 6, v35
	v_or_b32_e32 v35, v35, v32
	v_lshl_add_u32 v35, v35, 2, 0
	ds_read2_b32 v[30:31], v8 offset0:124 offset1:250
	s_waitcnt vmcnt(0) lgkmcnt(0)
	s_barrier
	s_mov_b32 s6, 0xaaab
	v_cmp_gt_u32_e32 vcc, 18, v0
	v_mul_f16_sdwa v46, v7, v36 dst_sel:DWORD dst_unused:UNUSED_PAD src0_sel:WORD_1 src1_sel:DWORD
	v_mul_f16_sdwa v48, v6, v37 dst_sel:DWORD dst_unused:UNUSED_PAD src0_sel:WORD_1 src1_sel:DWORD
	;; [unrolled: 1-line block ×8, first 2 shown]
	v_mul_f16_sdwa v54, v33, v7 dst_sel:DWORD dst_unused:UNUSED_PAD src0_sel:DWORD src1_sel:WORD_1
	v_mul_f16_sdwa v55, v40, v7 dst_sel:DWORD dst_unused:UNUSED_PAD src0_sel:DWORD src1_sel:WORD_1
	v_mul_f16_sdwa v56, v7, v22 dst_sel:DWORD dst_unused:UNUSED_PAD src0_sel:WORD_1 src1_sel:DWORD
	v_mul_f16_sdwa v57, v23, v7 dst_sel:DWORD dst_unused:UNUSED_PAD src0_sel:DWORD src1_sel:WORD_1
	v_mul_f16_sdwa v58, v41, v6 dst_sel:DWORD dst_unused:UNUSED_PAD src0_sel:DWORD src1_sel:WORD_1
	;; [unrolled: 1-line block ×6, first 2 shown]
	v_fma_f16 v16, v7, v16, -v46
	v_fma_f16 v17, v7, v17, -v49
	v_mul_f16_sdwa v46, v34, v7 dst_sel:DWORD dst_unused:UNUSED_PAD src0_sel:DWORD src1_sel:WORD_1
	v_mul_f16_sdwa v49, v6, v27 dst_sel:DWORD dst_unused:UNUSED_PAD src0_sel:WORD_1 src1_sel:DWORD
	v_fma_f16 v18, v6, v18, -v48
	v_mul_f16_sdwa v48, v6, v44 dst_sel:DWORD dst_unused:UNUSED_PAD src0_sel:WORD_1 src1_sel:DWORD
	v_fma_f16 v19, v6, v19, -v51
	v_fma_f16 v22, v7, v22, -v54
	;; [unrolled: 1-line block ×5, first 2 shown]
	v_fma_f16 v36, v7, v36, v47
	v_fma_f16 v37, v6, v37, v52
	;; [unrolled: 1-line block ×8, first 2 shown]
	v_fma_f16 v34, v34, v7, -v62
	v_fma_f16 v7, v43, v7, v46
	v_fma_f16 v43, v6, v44, v49
	v_fma_f16 v6, v6, v27, -v48
	v_add_f16_e32 v27, v28, v6
	v_add_f16_e32 v44, v6, v16
	v_sub_f16_e32 v46, v43, v36
	v_add_f16_e32 v47, v45, v43
	v_add_f16_e32 v43, v43, v36
	v_sub_f16_e32 v6, v6, v16
	v_add_f16_e32 v16, v27, v16
	v_add_f16_e32 v27, v47, v36
	v_fma_f16 v36, v43, -0.5, v45
	v_fma_f16 v28, v44, -0.5, v28
	v_pack_b32_f16 v16, v16, v27
	v_fma_f16 v27, v46, s4, v28
	v_fma_f16 v43, v6, s5, v36
	v_pack_b32_f16 v27, v27, v43
	ds_write2_b32 v35, v16, v27 offset1:2
	v_fma_f16 v16, v46, s5, v28
	v_fma_f16 v6, v6, s4, v36
	v_pack_b32_f16 v6, v16, v6
	v_lshrrev_b32_e32 v16, 16, v29
	ds_write_b32 v35, v6 offset:16
	v_add_f16_e32 v6, v18, v17
	v_add_f16_e32 v27, v29, v18
	;; [unrolled: 1-line block ×4, first 2 shown]
	v_fma_f16 v6, v6, -0.5, v29
	v_add_f16_e32 v28, v28, v38
	v_sub_f16_e32 v29, v37, v38
	v_fma_f16 v16, v35, -0.5, v16
	v_add_f16_e32 v27, v27, v17
	v_sub_f16_e32 v17, v18, v17
	v_pack_b32_f16 v18, v27, v28
	v_fma_f16 v27, v29, s4, v6
	v_fma_f16 v28, v17, s5, v16
	v_pack_b32_f16 v27, v27, v28
	v_lshrrev_b32_e32 v28, 1, v21
	v_mul_u32_u24_e32 v28, 6, v28
	v_or_b32_e32 v28, v28, v32
	v_fma_f16 v6, v29, s5, v6
	v_fma_f16 v16, v17, s4, v16
	v_lshl_add_u32 v28, v28, 2, 0
	v_pack_b32_f16 v6, v6, v16
	ds_write2_b32 v28, v18, v27 offset1:2
	ds_write_b32 v28, v6 offset:16
	v_lshrrev_b32_e32 v6, 16, v30
	v_add_f16_e32 v18, v39, v33
	v_add_f16_e32 v16, v6, v39
	v_fma_f16 v6, v18, -0.5, v6
	v_add_f16_e32 v18, v30, v19
	v_add_f16_e32 v16, v16, v33
	;; [unrolled: 1-line block ×4, first 2 shown]
	v_sub_f16_e32 v17, v39, v33
	v_sub_f16_e32 v19, v19, v22
	v_pack_b32_f16 v16, v18, v16
	v_fma_f16 v18, v27, -0.5, v30
	v_fma_f16 v22, v17, s4, v18
	v_fma_f16 v27, v19, s5, v6
	v_pack_b32_f16 v22, v22, v27
	v_lshrrev_b32_e32 v27, 1, v1
	v_mul_u32_u24_e32 v27, 6, v27
	v_or_b32_e32 v27, v27, v32
	v_lshl_add_u32 v27, v27, 2, 0
	ds_write2_b32 v27, v16, v22 offset1:2
	v_fma_f16 v16, v17, s5, v18
	v_fma_f16 v6, v19, s4, v6
	v_add_f16_e32 v17, v24, v23
	v_pack_b32_f16 v6, v16, v6
	v_fma_f16 v17, v17, -0.5, v31
	v_lshrrev_b32_e32 v18, 16, v31
	v_add_f16_e32 v19, v31, v24
	v_sub_f16_e32 v22, v41, v40
	v_add_f16_e32 v29, v41, v40
	ds_write_b32 v27, v6 offset:16
	v_lshrrev_b32_e32 v6, 1, v14
	v_fma_f16 v28, v22, s4, v17
	v_fma_f16 v17, v22, s5, v17
	v_add_f16_e32 v22, v18, v41
	v_fma_f16 v18, v29, -0.5, v18
	v_add_f16_e32 v19, v19, v23
	v_sub_f16_e32 v23, v24, v23
	v_mul_u32_u24_e32 v6, 6, v6
	v_add_f16_e32 v22, v22, v40
	v_fma_f16 v24, v23, s5, v18
	v_fma_f16 v18, v23, s4, v18
	v_add_f16_e32 v23, v25, v34
	v_or_b32_e32 v6, v6, v32
	v_fma_f16 v23, v23, -0.5, v26
	v_lshrrev_b32_e32 v29, 16, v26
	v_sub_f16_e32 v30, v42, v7
	v_lshl_add_u32 v6, v6, 2, 0
	v_pack_b32_f16 v16, v19, v22
	v_pack_b32_f16 v19, v28, v24
	v_fma_f16 v31, v30, s4, v23
	v_fma_f16 v23, v30, s5, v23
	v_add_f16_e32 v30, v29, v42
	ds_write2_b32 v6, v16, v19 offset1:2
	v_pack_b32_f16 v16, v17, v18
	v_add_f16_e32 v30, v30, v7
	v_add_f16_e32 v7, v42, v7
	ds_write_b32 v6, v16 offset:16
	v_lshrrev_b32_e32 v6, 1, v15
	v_add_f16_e32 v26, v26, v25
	v_fma_f16 v7, v7, -0.5, v29
	v_sub_f16_e32 v25, v25, v34
	v_mul_u32_u24_e32 v6, 6, v6
	v_add_f16_e32 v26, v26, v34
	v_fma_f16 v29, v25, s5, v7
	v_fma_f16 v7, v25, s4, v7
	v_or_b32_e32 v6, v6, v32
	v_lshl_add_u32 v6, v6, 2, 0
	v_pack_b32_f16 v16, v26, v30
	v_pack_b32_f16 v17, v31, v29
	;; [unrolled: 1-line block ×3, first 2 shown]
	ds_write2_b32 v6, v16, v17 offset1:2
	ds_write_b32 v6, v7 offset:16
	v_mul_u32_u24_sdwa v6, v15, s6 dst_sel:DWORD dst_unused:UNUSED_PAD src0_sel:WORD_0 src1_sel:DWORD
	v_lshrrev_b32_e32 v28, 18, v6
	v_mul_lo_u16_e32 v6, 6, v28
	v_sub_u16_e32 v29, v15, v6
	v_lshlrev_b32_e32 v6, 3, v29
	s_waitcnt lgkmcnt(0)
	s_barrier
	global_load_dwordx2 v[6:7], v6, s[8:9] offset:16
	v_mul_u32_u24_sdwa v16, v14, s6 dst_sel:DWORD dst_unused:UNUSED_PAD src0_sel:WORD_0 src1_sel:DWORD
	v_lshrrev_b32_e32 v30, 18, v16
	v_mul_lo_u16_e32 v16, 6, v30
	v_sub_u16_e32 v31, v14, v16
	v_lshlrev_b32_e32 v16, 3, v31
	global_load_dwordx2 v[16:17], v16, s[8:9] offset:16
	v_mul_u32_u24_sdwa v18, v1, s6 dst_sel:DWORD dst_unused:UNUSED_PAD src0_sel:WORD_0 src1_sel:DWORD
	v_lshrrev_b32_e32 v32, 18, v18
	v_mul_lo_u16_e32 v18, 6, v32
	v_sub_u16_e32 v33, v1, v18
	v_lshlrev_b32_e32 v18, 3, v33
	global_load_dwordx2 v[18:19], v18, s[8:9] offset:16
	s_movk_i32 s6, 0xab
	v_mul_lo_u16_sdwa v22, v21, s6 dst_sel:DWORD dst_unused:UNUSED_PAD src0_sel:BYTE_0 src1_sel:DWORD
	v_lshrrev_b16_e32 v34, 10, v22
	v_mul_lo_u16_e32 v22, 6, v34
	v_sub_u16_e32 v35, v21, v22
	v_mov_b32_e32 v36, 3
	v_lshlrev_b32_sdwa v22, v36, v35 dst_sel:DWORD dst_unused:UNUSED_PAD src0_sel:DWORD src1_sel:BYTE_0
	global_load_dwordx2 v[22:23], v22, s[8:9] offset:16
	v_mul_lo_u16_sdwa v24, v0, s6 dst_sel:DWORD dst_unused:UNUSED_PAD src0_sel:BYTE_0 src1_sel:DWORD
	v_lshrrev_b16_e32 v37, 10, v24
	v_mul_lo_u16_e32 v24, 6, v37
	v_sub_u16_e32 v38, v0, v24
	v_lshlrev_b32_sdwa v24, v36, v38 dst_sel:DWORD dst_unused:UNUSED_PAD src0_sel:DWORD src1_sel:BYTE_0
	global_load_dwordx2 v[24:25], v24, s[8:9] offset:16
	ds_read2_b32 v[26:27], v12 offset0:112 offset1:238
	ds_read_b32 v39, v20 offset:7056
	ds_read_u16 v42, v20 offset:3530
	v_mul_u32_u24_e32 v34, 0x48, v34
	v_mul_u32_u24_e32 v32, 0x48, v32
	s_waitcnt lgkmcnt(2)
	v_lshrrev_b32_e32 v41, 16, v27
	s_waitcnt lgkmcnt(1)
	v_lshrrev_b32_e32 v43, 16, v39
	v_lshrrev_b32_e32 v40, 16, v26
	v_lshlrev_b32_e32 v33, 2, v33
	v_add3_u32 v32, 0, v32, v33
	s_mov_b32 s6, 0xe38f
	s_waitcnt vmcnt(4)
	v_mul_f16_sdwa v44, v43, v7 dst_sel:DWORD dst_unused:UNUSED_PAD src0_sel:DWORD src1_sel:WORD_1
	v_fma_f16 v44, v39, v7, -v44
	v_mul_f16_sdwa v39, v39, v7 dst_sel:DWORD dst_unused:UNUSED_PAD src0_sel:DWORD src1_sel:WORD_1
	v_fma_f16 v39, v43, v7, v39
	v_mul_f16_sdwa v7, v27, v6 dst_sel:DWORD dst_unused:UNUSED_PAD src0_sel:DWORD src1_sel:WORD_1
	v_fma_f16 v43, v41, v6, v7
	v_mul_f16_sdwa v7, v41, v6 dst_sel:DWORD dst_unused:UNUSED_PAD src0_sel:DWORD src1_sel:WORD_1
	v_fma_f16 v27, v27, v6, -v7
	ds_read2_b32 v[6:7], v13 offset0:104 offset1:230
	s_waitcnt vmcnt(3)
	v_mul_f16_sdwa v41, v40, v16 dst_sel:DWORD dst_unused:UNUSED_PAD src0_sel:DWORD src1_sel:WORD_1
	v_fma_f16 v41, v26, v16, -v41
	v_mul_f16_sdwa v26, v26, v16 dst_sel:DWORD dst_unused:UNUSED_PAD src0_sel:DWORD src1_sel:WORD_1
	v_fma_f16 v26, v40, v16, v26
	s_waitcnt lgkmcnt(0)
	v_lshrrev_b32_e32 v16, 16, v7
	v_mul_f16_sdwa v40, v7, v17 dst_sel:DWORD dst_unused:UNUSED_PAD src0_sel:DWORD src1_sel:WORD_1
	v_fma_f16 v40, v16, v17, v40
	v_mul_f16_sdwa v16, v16, v17 dst_sel:DWORD dst_unused:UNUSED_PAD src0_sel:DWORD src1_sel:WORD_1
	v_fma_f16 v45, v7, v17, -v16
	ds_read2_b32 v[16:17], v10 offset0:116 offset1:242
	v_lshrrev_b32_e32 v7, 16, v6
	s_waitcnt vmcnt(2)
	v_mul_f16_sdwa v46, v7, v19 dst_sel:DWORD dst_unused:UNUSED_PAD src0_sel:DWORD src1_sel:WORD_1
	v_fma_f16 v46, v6, v19, -v46
	v_mul_f16_sdwa v6, v6, v19 dst_sel:DWORD dst_unused:UNUSED_PAD src0_sel:DWORD src1_sel:WORD_1
	v_fma_f16 v19, v7, v19, v6
	s_waitcnt lgkmcnt(0)
	v_mul_f16_sdwa v6, v18, v17 dst_sel:DWORD dst_unused:UNUSED_PAD src0_sel:WORD_1 src1_sel:DWORD
	v_fma_f16 v47, v42, v18, v6
	v_mul_f16_sdwa v6, v42, v18 dst_sel:DWORD dst_unused:UNUSED_PAD src0_sel:DWORD src1_sel:WORD_1
	v_fma_f16 v42, v18, v17, -v6
	ds_read2_b32 v[6:7], v11 offset0:108 offset1:234
	v_lshrrev_b32_e32 v17, 16, v16
	s_waitcnt vmcnt(1)
	v_mul_f16_sdwa v18, v22, v17 dst_sel:DWORD dst_unused:UNUSED_PAD src0_sel:WORD_1 src1_sel:DWORD
	v_fma_f16 v48, v22, v16, -v18
	v_mul_f16_sdwa v16, v22, v16 dst_sel:DWORD dst_unused:UNUSED_PAD src0_sel:WORD_1 src1_sel:DWORD
	v_fma_f16 v49, v22, v17, v16
	s_waitcnt lgkmcnt(0)
	v_lshrrev_b32_e32 v16, 16, v7
	v_mul_f16_sdwa v17, v23, v7 dst_sel:DWORD dst_unused:UNUSED_PAD src0_sel:WORD_1 src1_sel:DWORD
	v_fma_f16 v50, v23, v16, v17
	v_mul_f16_sdwa v16, v23, v16 dst_sel:DWORD dst_unused:UNUSED_PAD src0_sel:WORD_1 src1_sel:DWORD
	v_fma_f16 v23, v23, v7, -v16
	v_lshrrev_b32_e32 v7, 16, v6
	ds_read2_b32 v[16:17], v9 offset0:120 offset1:246
	s_waitcnt vmcnt(0)
	v_mul_f16_sdwa v18, v25, v7 dst_sel:DWORD dst_unused:UNUSED_PAD src0_sel:WORD_1 src1_sel:DWORD
	v_fma_f16 v18, v25, v6, -v18
	v_mul_f16_sdwa v6, v25, v6 dst_sel:DWORD dst_unused:UNUSED_PAD src0_sel:WORD_1 src1_sel:DWORD
	v_fma_f16 v22, v25, v7, v6
	ds_read2_b32 v[6:7], v20 offset1:126
	s_waitcnt lgkmcnt(1)
	v_lshrrev_b32_e32 v25, 16, v17
	v_mul_f16_sdwa v51, v24, v17 dst_sel:DWORD dst_unused:UNUSED_PAD src0_sel:WORD_1 src1_sel:DWORD
	v_fma_f16 v51, v24, v25, v51
	v_mul_f16_sdwa v25, v24, v25 dst_sel:DWORD dst_unused:UNUSED_PAD src0_sel:WORD_1 src1_sel:DWORD
	v_fma_f16 v17, v24, v17, -v25
	s_waitcnt lgkmcnt(0)
	v_lshrrev_b32_e32 v24, 16, v6
	v_add_f16_e32 v25, v24, v51
	v_add_f16_e32 v25, v25, v22
	v_sub_f16_e32 v52, v51, v22
	v_add_f16_e32 v22, v51, v22
	v_fma_f16 v24, v22, -0.5, v24
	v_add_f16_e32 v22, v6, v17
	v_add_f16_e32 v51, v22, v18
	;; [unrolled: 1-line block ×3, first 2 shown]
	v_mov_b32_e32 v22, 2
	v_sub_f16_e32 v54, v17, v18
	v_mul_u32_u24_e32 v17, 0x48, v37
	v_lshlrev_b32_sdwa v18, v22, v38 dst_sel:DWORD dst_unused:UNUSED_PAD src0_sel:DWORD src1_sel:BYTE_0
	v_fma_f16 v6, v53, -0.5, v6
	v_add3_u32 v37, 0, v17, v18
	v_fma_f16 v17, v52, s4, v6
	v_fma_f16 v18, v54, s5, v24
	;; [unrolled: 1-line block ×4, first 2 shown]
	v_pack_b32_f16 v6, v6, v24
	v_pack_b32_f16 v25, v51, v25
	;; [unrolled: 1-line block ×3, first 2 shown]
	ds_read2_b32 v[17:18], v8 offset0:124 offset1:250
	s_waitcnt lgkmcnt(0)
	s_barrier
	ds_write_b32 v37, v6 offset:48
	v_add_f16_e32 v6, v48, v23
	v_lshrrev_b32_e32 v24, 16, v7
	ds_write2_b32 v37, v25, v38 offset1:6
	v_fma_f16 v6, v6, -0.5, v7
	v_add_f16_e32 v7, v7, v48
	v_add_f16_e32 v25, v24, v49
	;; [unrolled: 1-line block ×4, first 2 shown]
	v_sub_f16_e32 v37, v49, v50
	v_fma_f16 v24, v38, -0.5, v24
	v_add_f16_e32 v7, v7, v23
	v_sub_f16_e32 v23, v48, v23
	v_lshlrev_b32_sdwa v35, v22, v35 dst_sel:DWORD dst_unused:UNUSED_PAD src0_sel:DWORD src1_sel:BYTE_0
	v_add3_u32 v34, 0, v34, v35
	v_pack_b32_f16 v7, v7, v25
	v_fma_f16 v25, v37, s4, v6
	v_fma_f16 v35, v23, s5, v24
	v_pack_b32_f16 v25, v25, v35
	ds_write2_b32 v34, v7, v25 offset1:6
	v_fma_f16 v6, v37, s5, v6
	v_fma_f16 v7, v23, s4, v24
	v_pack_b32_f16 v6, v6, v7
	ds_write_b32 v34, v6 offset:48
	v_lshrrev_b32_e32 v6, 16, v17
	v_add_f16_e32 v7, v6, v47
	v_add_f16_e32 v7, v7, v19
	v_sub_f16_e32 v23, v47, v19
	v_add_f16_e32 v19, v47, v19
	v_fma_f16 v6, v19, -0.5, v6
	v_add_f16_e32 v19, v17, v42
	v_add_f16_e32 v24, v42, v46
	;; [unrolled: 1-line block ×3, first 2 shown]
	v_sub_f16_e32 v25, v42, v46
	v_fma_f16 v17, v24, -0.5, v17
	v_pack_b32_f16 v7, v19, v7
	v_fma_f16 v19, v23, s4, v17
	v_fma_f16 v24, v25, s5, v6
	v_pack_b32_f16 v19, v19, v24
	ds_write2_b32 v32, v7, v19 offset1:6
	v_fma_f16 v7, v23, s5, v17
	v_fma_f16 v6, v25, s4, v6
	v_pack_b32_f16 v6, v7, v6
	ds_write_b32 v32, v6 offset:48
	v_add_f16_e32 v6, v41, v45
	v_fma_f16 v6, v6, -0.5, v18
	v_lshrrev_b32_e32 v7, 16, v18
	v_add_f16_e32 v17, v18, v41
	v_sub_f16_e32 v18, v26, v40
	v_add_f16_e32 v23, v26, v40
	v_fma_f16 v19, v18, s4, v6
	v_fma_f16 v6, v18, s5, v6
	v_add_f16_e32 v18, v7, v26
	v_fma_f16 v7, v23, -0.5, v7
	v_sub_f16_e32 v23, v41, v45
	v_fma_f16 v24, v23, s5, v7
	v_fma_f16 v7, v23, s4, v7
	v_add_f16_e32 v23, v27, v44
	v_fma_f16 v23, v23, -0.5, v16
	v_lshrrev_b32_e32 v25, 16, v16
	v_sub_f16_e32 v26, v43, v39
	v_add_f16_e32 v33, v43, v39
	v_add_f16_e32 v16, v16, v27
	v_fma_f16 v32, v26, s4, v23
	v_fma_f16 v23, v26, s5, v23
	v_add_f16_e32 v26, v25, v43
	v_fma_f16 v25, v33, -0.5, v25
	v_sub_f16_e32 v27, v27, v44
	v_fma_f16 v33, v27, s5, v25
	v_fma_f16 v25, v27, s4, v25
	v_mul_u32_u24_e32 v27, 0x48, v30
	v_lshlrev_b32_e32 v30, 2, v31
	v_add3_u32 v27, 0, v27, v30
	v_pack_b32_f16 v6, v6, v7
	v_add_f16_e32 v18, v18, v40
	v_add_f16_e32 v17, v17, v45
	;; [unrolled: 1-line block ×4, first 2 shown]
	ds_write_b32 v27, v6 offset:48
	v_mul_u32_u24_e32 v6, 0x48, v28
	v_lshlrev_b32_e32 v7, 2, v29
	v_pack_b32_f16 v17, v17, v18
	v_pack_b32_f16 v18, v19, v24
	v_add3_u32 v6, 0, v6, v7
	v_pack_b32_f16 v7, v16, v26
	v_pack_b32_f16 v16, v32, v33
	ds_write2_b32 v27, v17, v18 offset1:6
	ds_write2_b32 v6, v7, v16 offset1:6
	v_pack_b32_f16 v7, v23, v25
	ds_write_b32 v6, v7 offset:48
	v_mul_u32_u24_sdwa v6, v15, s6 dst_sel:DWORD dst_unused:UNUSED_PAD src0_sel:WORD_0 src1_sel:DWORD
	v_lshrrev_b32_e32 v27, 20, v6
	v_mul_lo_u16_e32 v6, 18, v27
	v_sub_u16_e32 v28, v15, v6
	v_lshlrev_b32_e32 v6, 3, v28
	v_mul_u32_u24_sdwa v15, v14, s6 dst_sel:DWORD dst_unused:UNUSED_PAD src0_sel:WORD_0 src1_sel:DWORD
	s_waitcnt lgkmcnt(0)
	s_barrier
	global_load_dwordx2 v[6:7], v6, s[8:9] offset:64
	v_lshrrev_b32_e32 v29, 20, v15
	v_mul_lo_u16_e32 v15, 18, v29
	v_sub_u16_e32 v30, v14, v15
	v_lshlrev_b32_e32 v14, 3, v30
	global_load_dwordx2 v[14:15], v14, s[8:9] offset:64
	v_mul_u32_u24_sdwa v16, v1, s6 dst_sel:DWORD dst_unused:UNUSED_PAD src0_sel:WORD_0 src1_sel:DWORD
	v_lshrrev_b32_e32 v31, 20, v16
	v_mul_lo_u16_e32 v16, 18, v31
	v_sub_u16_e32 v32, v1, v16
	v_lshlrev_b32_e32 v16, 3, v32
	global_load_dwordx2 v[16:17], v16, s[8:9] offset:64
	v_mov_b32_e32 v23, 57
	v_mul_lo_u16_sdwa v18, v21, v23 dst_sel:DWORD dst_unused:UNUSED_PAD src0_sel:BYTE_0 src1_sel:DWORD
	v_lshrrev_b16_e32 v33, 10, v18
	v_mul_lo_u16_e32 v18, 18, v33
	v_sub_u16_e32 v34, v21, v18
	v_lshlrev_b32_sdwa v18, v36, v34 dst_sel:DWORD dst_unused:UNUSED_PAD src0_sel:DWORD src1_sel:BYTE_0
	global_load_dwordx2 v[18:19], v18, s[8:9] offset:64
	v_mul_lo_u16_sdwa v23, v0, v23 dst_sel:DWORD dst_unused:UNUSED_PAD src0_sel:BYTE_0 src1_sel:DWORD
	v_lshrrev_b16_e32 v35, 10, v23
	v_mul_lo_u16_e32 v23, 18, v35
	v_sub_u16_e32 v37, v0, v23
	v_lshlrev_b32_sdwa v23, v36, v37 dst_sel:DWORD dst_unused:UNUSED_PAD src0_sel:DWORD src1_sel:BYTE_0
	global_load_dwordx2 v[23:24], v23, s[8:9] offset:64
	ds_read2_b32 v[25:26], v12 offset0:112 offset1:238
	ds_read_b32 v36, v20 offset:7056
	ds_read2_b32 v[12:13], v13 offset0:104 offset1:230
	ds_read_u16 v40, v20 offset:3530
	s_waitcnt lgkmcnt(3)
	v_lshrrev_b32_e32 v39, 16, v26
	s_waitcnt lgkmcnt(2)
	v_lshrrev_b32_e32 v41, 16, v36
	v_lshrrev_b32_e32 v38, 16, v25
	s_waitcnt vmcnt(4)
	v_mul_f16_sdwa v42, v41, v7 dst_sel:DWORD dst_unused:UNUSED_PAD src0_sel:DWORD src1_sel:WORD_1
	v_fma_f16 v42, v36, v7, -v42
	v_mul_f16_sdwa v36, v36, v7 dst_sel:DWORD dst_unused:UNUSED_PAD src0_sel:DWORD src1_sel:WORD_1
	v_fma_f16 v36, v41, v7, v36
	v_mul_f16_sdwa v7, v26, v6 dst_sel:DWORD dst_unused:UNUSED_PAD src0_sel:DWORD src1_sel:WORD_1
	v_fma_f16 v41, v39, v6, v7
	v_mul_f16_sdwa v7, v39, v6 dst_sel:DWORD dst_unused:UNUSED_PAD src0_sel:DWORD src1_sel:WORD_1
	v_fma_f16 v26, v26, v6, -v7
	s_waitcnt vmcnt(3)
	v_mul_f16_sdwa v7, v38, v14 dst_sel:DWORD dst_unused:UNUSED_PAD src0_sel:DWORD src1_sel:WORD_1
	v_fma_f16 v39, v25, v14, -v7
	v_mul_f16_sdwa v7, v25, v14 dst_sel:DWORD dst_unused:UNUSED_PAD src0_sel:DWORD src1_sel:WORD_1
	s_waitcnt lgkmcnt(1)
	v_lshrrev_b32_e32 v6, 16, v13
	v_fma_f16 v14, v38, v14, v7
	v_mul_f16_sdwa v7, v13, v15 dst_sel:DWORD dst_unused:UNUSED_PAD src0_sel:DWORD src1_sel:WORD_1
	v_fma_f16 v25, v6, v15, v7
	v_mul_f16_sdwa v6, v6, v15 dst_sel:DWORD dst_unused:UNUSED_PAD src0_sel:DWORD src1_sel:WORD_1
	v_fma_f16 v13, v13, v15, -v6
	ds_read2_b32 v[6:7], v10 offset0:116 offset1:242
	v_lshrrev_b32_e32 v15, 16, v12
	s_waitcnt vmcnt(2)
	v_mul_f16_sdwa v10, v15, v17 dst_sel:DWORD dst_unused:UNUSED_PAD src0_sel:DWORD src1_sel:WORD_1
	v_fma_f16 v38, v12, v17, -v10
	v_mul_f16_sdwa v10, v12, v17 dst_sel:DWORD dst_unused:UNUSED_PAD src0_sel:DWORD src1_sel:WORD_1
	v_fma_f16 v12, v15, v17, v10
	s_waitcnt lgkmcnt(0)
	v_mul_f16_sdwa v10, v16, v7 dst_sel:DWORD dst_unused:UNUSED_PAD src0_sel:WORD_1 src1_sel:DWORD
	v_fma_f16 v15, v40, v16, v10
	v_mul_f16_sdwa v10, v40, v16 dst_sel:DWORD dst_unused:UNUSED_PAD src0_sel:DWORD src1_sel:WORD_1
	v_fma_f16 v16, v16, v7, -v10
	ds_read2_b32 v[10:11], v11 offset0:108 offset1:234
	v_lshrrev_b32_e32 v7, 16, v6
	s_waitcnt vmcnt(1)
	v_mul_f16_sdwa v17, v18, v7 dst_sel:DWORD dst_unused:UNUSED_PAD src0_sel:WORD_1 src1_sel:DWORD
	v_fma_f16 v17, v18, v6, -v17
	v_mul_f16_sdwa v6, v18, v6 dst_sel:DWORD dst_unused:UNUSED_PAD src0_sel:WORD_1 src1_sel:DWORD
	v_fma_f16 v18, v18, v7, v6
	s_waitcnt lgkmcnt(0)
	v_lshrrev_b32_e32 v6, 16, v11
	v_mul_f16_sdwa v7, v19, v11 dst_sel:DWORD dst_unused:UNUSED_PAD src0_sel:WORD_1 src1_sel:DWORD
	v_fma_f16 v40, v19, v6, v7
	v_mul_f16_sdwa v6, v19, v6 dst_sel:DWORD dst_unused:UNUSED_PAD src0_sel:WORD_1 src1_sel:DWORD
	v_fma_f16 v11, v19, v11, -v6
	v_lshrrev_b32_e32 v19, 16, v10
	ds_read2_b32 v[6:7], v9 offset0:120 offset1:246
	s_waitcnt vmcnt(0)
	v_mul_f16_sdwa v9, v24, v19 dst_sel:DWORD dst_unused:UNUSED_PAD src0_sel:WORD_1 src1_sel:DWORD
	v_fma_f16 v43, v24, v10, -v9
	v_mul_f16_sdwa v9, v24, v10 dst_sel:DWORD dst_unused:UNUSED_PAD src0_sel:WORD_1 src1_sel:DWORD
	v_fma_f16 v19, v24, v19, v9
	ds_read2_b32 v[9:10], v20 offset1:126
	s_waitcnt lgkmcnt(1)
	v_lshrrev_b32_e32 v24, 16, v7
	v_mul_f16_sdwa v44, v23, v7 dst_sel:DWORD dst_unused:UNUSED_PAD src0_sel:WORD_1 src1_sel:DWORD
	v_fma_f16 v44, v23, v24, v44
	v_mul_f16_sdwa v24, v23, v24 dst_sel:DWORD dst_unused:UNUSED_PAD src0_sel:WORD_1 src1_sel:DWORD
	v_fma_f16 v7, v23, v7, -v24
	s_waitcnt lgkmcnt(0)
	v_lshrrev_b32_e32 v23, 16, v9
	v_add_f16_e32 v24, v23, v44
	v_add_f16_e32 v24, v24, v19
	v_sub_f16_e32 v45, v44, v19
	v_add_f16_e32 v19, v44, v19
	v_fma_f16 v19, v19, -0.5, v23
	v_add_f16_e32 v23, v9, v7
	v_add_f16_e32 v44, v7, v43
	;; [unrolled: 1-line block ×3, first 2 shown]
	v_sub_f16_e32 v43, v7, v43
	v_mul_u32_u24_e32 v7, 0xd8, v35
	v_lshlrev_b32_sdwa v35, v22, v37 dst_sel:DWORD dst_unused:UNUSED_PAD src0_sel:DWORD src1_sel:BYTE_0
	v_fma_f16 v9, v44, -0.5, v9
	v_add3_u32 v35, 0, v7, v35
	v_pack_b32_f16 v23, v23, v24
	v_fma_f16 v7, v45, s4, v9
	v_fma_f16 v24, v43, s5, v19
	;; [unrolled: 1-line block ×4, first 2 shown]
	v_pack_b32_f16 v9, v9, v19
	v_pack_b32_f16 v24, v7, v24
	ds_read2_b32 v[7:8], v8 offset0:124 offset1:250
	s_waitcnt lgkmcnt(0)
	s_barrier
	ds_write_b32 v35, v9 offset:144
	v_add_f16_e32 v9, v17, v11
	v_lshrrev_b32_e32 v19, 16, v10
	ds_write2_b32 v35, v23, v24 offset1:18
	v_fma_f16 v9, v9, -0.5, v10
	v_add_f16_e32 v10, v10, v17
	v_add_f16_e32 v23, v19, v18
	v_sub_f16_e32 v24, v18, v40
	v_add_f16_e32 v18, v18, v40
	v_add_f16_e32 v23, v23, v40
	v_fma_f16 v18, v18, -0.5, v19
	v_add_f16_e32 v10, v10, v11
	v_sub_f16_e32 v11, v17, v11
	v_mul_u32_u24_e32 v17, 0xd8, v33
	v_lshlrev_b32_sdwa v19, v22, v34 dst_sel:DWORD dst_unused:UNUSED_PAD src0_sel:DWORD src1_sel:BYTE_0
	v_add3_u32 v17, 0, v17, v19
	v_pack_b32_f16 v10, v10, v23
	v_fma_f16 v19, v24, s4, v9
	v_fma_f16 v23, v11, s5, v18
	v_pack_b32_f16 v19, v19, v23
	ds_write2_b32 v17, v10, v19 offset1:18
	v_fma_f16 v9, v24, s5, v9
	v_fma_f16 v10, v11, s4, v18
	v_pack_b32_f16 v9, v9, v10
	ds_write_b32 v17, v9 offset:144
	v_add_f16_e32 v9, v16, v38
	v_fma_f16 v9, v9, -0.5, v7
	v_sub_f16_e32 v10, v15, v12
	v_fma_f16 v11, v10, s4, v9
	v_fma_f16 v9, v10, s5, v9
	v_lshrrev_b32_e32 v10, 16, v7
	v_add_f16_e32 v17, v10, v15
	v_add_f16_e32 v17, v17, v12
	;; [unrolled: 1-line block ×3, first 2 shown]
	v_fma_f16 v10, v12, -0.5, v10
	v_sub_f16_e32 v12, v16, v38
	v_fma_f16 v15, v12, s5, v10
	v_fma_f16 v10, v12, s4, v10
	v_add_f16_e32 v12, v39, v13
	v_add_f16_e32 v7, v7, v16
	v_fma_f16 v12, v12, -0.5, v8
	v_lshrrev_b32_e32 v16, 16, v8
	v_sub_f16_e32 v18, v14, v25
	v_add_f16_e32 v8, v8, v39
	v_fma_f16 v19, v18, s4, v12
	v_fma_f16 v12, v18, s5, v12
	v_add_f16_e32 v18, v16, v14
	v_add_f16_e32 v14, v14, v25
	v_fma_f16 v14, v14, -0.5, v16
	v_add_f16_e32 v8, v8, v13
	v_sub_f16_e32 v13, v39, v13
	v_fma_f16 v16, v13, s5, v14
	v_fma_f16 v13, v13, s4, v14
	v_add_f16_e32 v14, v26, v42
	v_fma_f16 v14, v14, -0.5, v6
	v_lshrrev_b32_e32 v24, 16, v6
	v_sub_f16_e32 v23, v41, v36
	v_add_f16_e32 v33, v41, v36
	v_add_f16_e32 v18, v18, v25
	;; [unrolled: 1-line block ×3, first 2 shown]
	v_fma_f16 v25, v23, s4, v14
	v_fma_f16 v23, v23, s5, v14
	v_add_f16_e32 v14, v24, v41
	v_fma_f16 v24, v33, -0.5, v24
	v_sub_f16_e32 v26, v26, v42
	v_add_f16_e32 v7, v7, v38
	v_fma_f16 v33, v26, s5, v24
	v_fma_f16 v24, v26, s4, v24
	v_mul_u32_u24_e32 v26, 0xd8, v31
	v_lshlrev_b32_e32 v31, 2, v32
	v_add3_u32 v26, 0, v26, v31
	v_pack_b32_f16 v7, v7, v17
	v_pack_b32_f16 v11, v11, v15
	ds_write2_b32 v26, v7, v11 offset1:18
	v_pack_b32_f16 v7, v9, v10
	ds_write_b32 v26, v7 offset:144
	v_mul_u32_u24_e32 v7, 0xd8, v29
	v_lshlrev_b32_e32 v9, 2, v30
	v_add3_u32 v7, 0, v7, v9
	v_pack_b32_f16 v8, v8, v18
	v_pack_b32_f16 v9, v19, v16
	ds_write2_b32 v7, v8, v9 offset1:18
	v_pack_b32_f16 v8, v12, v13
	v_add_f16_e32 v14, v14, v36
	v_add_f16_e32 v6, v6, v42
	ds_write_b32 v7, v8 offset:144
	v_mul_u32_u24_e32 v7, 0xd8, v27
	v_lshlrev_b32_e32 v8, 2, v28
	v_add3_u32 v7, 0, v7, v8
	v_pack_b32_f16 v6, v6, v14
	v_pack_b32_f16 v8, v25, v33
	ds_write2_b32 v7, v6, v8 offset1:18
	v_pack_b32_f16 v6, v23, v24
	ds_write_b32 v7, v6 offset:144
	v_add_u32_e32 v6, 0x400, v20
	s_waitcnt lgkmcnt(0)
	s_barrier
	ds_read2_b32 v[12:13], v6 offset0:14 offset1:140
	v_add_u32_e32 v6, 0x800, v20
	ds_read2_b32 v[14:15], v6 offset0:28 offset1:154
	v_add_u32_e32 v6, 0xc00, v20
	;; [unrolled: 2-line block ×5, first 2 shown]
	ds_read2_b32 v[8:9], v6 offset0:84 offset1:210
	ds_read2_b32 v[6:7], v20 offset1:126
                                        ; implicit-def: $vgpr26
                                        ; implicit-def: $vgpr25
                                        ; implicit-def: $vgpr29
                                        ; implicit-def: $vgpr27
                                        ; implicit-def: $vgpr34
                                        ; implicit-def: $vgpr33
                                        ; implicit-def: $vgpr31
                                        ; implicit-def: $vgpr30
                                        ; implicit-def: $vgpr32
                                        ; implicit-def: $vgpr28
	s_and_saveexec_b64 s[4:5], vcc
	s_cbranch_execz .LBB0_23
; %bb.22:
	ds_read_b32 v23, v20 offset:1008
	ds_read_b32 v3, v20 offset:2088
	;; [unrolled: 1-line block ×7, first 2 shown]
	s_waitcnt lgkmcnt(6)
	v_lshrrev_b32_e32 v24, 16, v23
	s_waitcnt lgkmcnt(4)
	v_lshrrev_b32_e32 v26, 16, v25
	;; [unrolled: 2-line block ×6, first 2 shown]
.LBB0_23:
	s_or_b64 exec, exec, s[4:5]
	v_mov_b32_e32 v51, 19
	v_mul_lo_u16_sdwa v35, v0, v51 dst_sel:DWORD dst_unused:UNUSED_PAD src0_sel:BYTE_0 src1_sel:DWORD
	v_lshrrev_b16_e32 v52, 10, v35
	v_mul_lo_u16_e32 v35, 54, v52
	v_sub_u16_e32 v53, v0, v35
	v_mov_b32_e32 v54, 6
	v_mul_u32_u24_sdwa v35, v53, v54 dst_sel:DWORD dst_unused:UNUSED_PAD src0_sel:BYTE_0 src1_sel:DWORD
	v_lshlrev_b32_e32 v55, 2, v35
	global_load_dwordx4 v[35:38], v55, s[8:9] offset:208
	s_waitcnt lgkmcnt(6)
	v_lshrrev_b32_e32 v43, 16, v12
	s_waitcnt lgkmcnt(5)
	v_lshrrev_b32_e32 v44, 16, v14
	;; [unrolled: 2-line block ×6, first 2 shown]
	v_lshrrev_b32_e32 v49, 16, v13
	v_lshrrev_b32_e32 v50, 16, v15
	;; [unrolled: 1-line block ×6, first 2 shown]
	s_movk_i32 s11, 0x2b26
	s_movk_i32 s6, 0x3b00
	s_mov_b32 s10, 0xbcab
	s_movk_i32 s7, 0x39e0
	s_mov_b32 s13, 0xb9e0
	;; [unrolled: 2-line block ×3, first 2 shown]
	s_movk_i32 s12, 0x370e
	s_waitcnt vmcnt(0)
	v_mul_f16_sdwa v56, v35, v43 dst_sel:DWORD dst_unused:UNUSED_PAD src0_sel:WORD_1 src1_sel:DWORD
	v_fma_f16 v56, v35, v12, -v56
	v_mul_f16_sdwa v12, v35, v12 dst_sel:DWORD dst_unused:UNUSED_PAD src0_sel:WORD_1 src1_sel:DWORD
	v_fma_f16 v43, v35, v43, v12
	v_mul_f16_sdwa v12, v36, v44 dst_sel:DWORD dst_unused:UNUSED_PAD src0_sel:WORD_1 src1_sel:DWORD
	v_fma_f16 v57, v36, v14, -v12
	v_mul_f16_sdwa v12, v36, v14 dst_sel:DWORD dst_unused:UNUSED_PAD src0_sel:WORD_1 src1_sel:DWORD
	v_fma_f16 v14, v36, v44, v12
	global_load_dwordx2 v[35:36], v55, s[8:9] offset:224
	v_mul_f16_sdwa v12, v37, v45 dst_sel:DWORD dst_unused:UNUSED_PAD src0_sel:WORD_1 src1_sel:DWORD
	v_fma_f16 v44, v37, v16, -v12
	v_mul_f16_sdwa v12, v37, v16 dst_sel:DWORD dst_unused:UNUSED_PAD src0_sel:WORD_1 src1_sel:DWORD
	v_fma_f16 v16, v37, v45, v12
	v_mul_f16_sdwa v12, v38, v46 dst_sel:DWORD dst_unused:UNUSED_PAD src0_sel:WORD_1 src1_sel:DWORD
	v_fma_f16 v45, v38, v18, -v12
	v_mul_f16_sdwa v12, v38, v18 dst_sel:DWORD dst_unused:UNUSED_PAD src0_sel:WORD_1 src1_sel:DWORD
	v_fma_f16 v18, v38, v46, v12
	s_waitcnt vmcnt(0)
	v_mul_f16_sdwa v12, v35, v47 dst_sel:DWORD dst_unused:UNUSED_PAD src0_sel:WORD_1 src1_sel:DWORD
	v_fma_f16 v46, v35, v10, -v12
	v_mul_f16_sdwa v10, v35, v10 dst_sel:DWORD dst_unused:UNUSED_PAD src0_sel:WORD_1 src1_sel:DWORD
	v_mul_f16_sdwa v12, v36, v48 dst_sel:DWORD dst_unused:UNUSED_PAD src0_sel:WORD_1 src1_sel:DWORD
	v_fma_f16 v10, v35, v47, v10
	v_fma_f16 v47, v36, v8, -v12
	v_mul_f16_sdwa v8, v36, v8 dst_sel:DWORD dst_unused:UNUSED_PAD src0_sel:WORD_1 src1_sel:DWORD
	v_mul_lo_u16_sdwa v12, v21, v51 dst_sel:DWORD dst_unused:UNUSED_PAD src0_sel:BYTE_0 src1_sel:DWORD
	v_fma_f16 v8, v36, v48, v8
	v_lshrrev_b16_e32 v48, 10, v12
	v_mul_lo_u16_e32 v12, 54, v48
	v_sub_u16_e32 v51, v21, v12
	v_mul_u32_u24_sdwa v12, v51, v54 dst_sel:DWORD dst_unused:UNUSED_PAD src0_sel:BYTE_0 src1_sel:DWORD
	v_lshlrev_b32_e32 v12, 2, v12
	global_load_dwordx4 v[35:38], v12, s[8:9] offset:208
	s_waitcnt vmcnt(0)
	v_mul_f16_sdwa v54, v35, v49 dst_sel:DWORD dst_unused:UNUSED_PAD src0_sel:WORD_1 src1_sel:DWORD
	v_fma_f16 v54, v35, v13, -v54
	v_mul_f16_sdwa v13, v35, v13 dst_sel:DWORD dst_unused:UNUSED_PAD src0_sel:WORD_1 src1_sel:DWORD
	v_fma_f16 v35, v35, v49, v13
	v_mul_f16_sdwa v13, v36, v50 dst_sel:DWORD dst_unused:UNUSED_PAD src0_sel:WORD_1 src1_sel:DWORD
	v_fma_f16 v49, v36, v15, -v13
	v_mul_f16_sdwa v13, v36, v15 dst_sel:DWORD dst_unused:UNUSED_PAD src0_sel:WORD_1 src1_sel:DWORD
	v_fma_f16 v15, v36, v50, v13
	v_mul_f16_sdwa v13, v39, v37 dst_sel:DWORD dst_unused:UNUSED_PAD src0_sel:DWORD src1_sel:WORD_1
	v_fma_f16 v36, v17, v37, -v13
	v_mul_f16_sdwa v13, v17, v37 dst_sel:DWORD dst_unused:UNUSED_PAD src0_sel:DWORD src1_sel:WORD_1
	v_fma_f16 v17, v39, v37, v13
	v_mul_f16_sdwa v13, v40, v38 dst_sel:DWORD dst_unused:UNUSED_PAD src0_sel:DWORD src1_sel:WORD_1
	v_fma_f16 v37, v19, v38, -v13
	v_mul_f16_sdwa v13, v19, v38 dst_sel:DWORD dst_unused:UNUSED_PAD src0_sel:DWORD src1_sel:WORD_1
	v_fma_f16 v19, v40, v38, v13
	global_load_dwordx2 v[12:13], v12, s[8:9] offset:224
	v_add_f16_e32 v39, v43, v8
	v_sub_f16_e32 v40, v56, v47
	v_sub_f16_e32 v8, v43, v8
	;; [unrolled: 1-line block ×3, first 2 shown]
	s_waitcnt vmcnt(0) lgkmcnt(0)
	s_barrier
	v_mul_f16_sdwa v38, v41, v12 dst_sel:DWORD dst_unused:UNUSED_PAD src0_sel:DWORD src1_sel:WORD_1
	v_fma_f16 v38, v11, v12, -v38
	v_mul_f16_sdwa v11, v11, v12 dst_sel:DWORD dst_unused:UNUSED_PAD src0_sel:DWORD src1_sel:WORD_1
	v_fma_f16 v11, v41, v12, v11
	v_mul_f16_sdwa v12, v42, v13 dst_sel:DWORD dst_unused:UNUSED_PAD src0_sel:DWORD src1_sel:WORD_1
	v_fma_f16 v12, v9, v13, -v12
	v_mul_f16_sdwa v9, v9, v13 dst_sel:DWORD dst_unused:UNUSED_PAD src0_sel:DWORD src1_sel:WORD_1
	v_fma_f16 v9, v42, v13, v9
	v_add_f16_e32 v13, v56, v47
	v_add_f16_e32 v41, v57, v46
	;; [unrolled: 1-line block ×3, first 2 shown]
	v_sub_f16_e32 v10, v14, v10
	v_add_f16_e32 v14, v44, v45
	v_add_f16_e32 v46, v16, v18
	v_sub_f16_e32 v44, v45, v44
	v_sub_f16_e32 v16, v18, v16
	v_add_f16_e32 v18, v41, v13
	v_add_f16_e32 v45, v42, v39
	v_sub_f16_e32 v47, v41, v13
	v_sub_f16_e32 v50, v42, v39
	;; [unrolled: 1-line block ×6, first 2 shown]
	v_add_f16_e32 v55, v44, v43
	v_add_f16_e32 v56, v16, v10
	v_sub_f16_e32 v57, v44, v43
	v_sub_f16_e32 v58, v16, v10
	;; [unrolled: 1-line block ×4, first 2 shown]
	v_add_f16_e32 v14, v14, v18
	v_add_f16_e32 v18, v46, v45
	v_sub_f16_e32 v44, v40, v44
	v_sub_f16_e32 v16, v8, v16
	v_add_f16_e32 v40, v55, v40
	v_add_f16_e32 v8, v56, v8
	;; [unrolled: 1-line block ×3, first 2 shown]
	v_add_f16_sdwa v6, v18, v6 dst_sel:DWORD dst_unused:UNUSED_PAD src0_sel:DWORD src1_sel:WORD_1
	v_mul_f16_e32 v13, 0x3a52, v13
	v_mul_f16_e32 v39, 0x3a52, v39
	;; [unrolled: 1-line block ×8, first 2 shown]
	v_fma_f16 v14, v14, s10, v45
	v_fma_f16 v18, v18, s10, v6
	;; [unrolled: 1-line block ×4, first 2 shown]
	v_fma_f16 v46, v47, s7, -v46
	v_fma_f16 v55, v50, s7, -v55
	;; [unrolled: 1-line block ×4, first 2 shown]
	v_fma_f16 v47, v44, s14, v56
	v_fma_f16 v50, v16, s14, v57
	v_fma_f16 v43, v43, s6, -v56
	v_fma_f16 v10, v10, s6, -v57
	;; [unrolled: 1-line block ×4, first 2 shown]
	v_add_f16_e32 v41, v41, v14
	v_add_f16_e32 v42, v42, v18
	v_add_f16_e32 v46, v46, v14
	v_add_f16_e32 v55, v55, v18
	v_add_f16_e32 v13, v13, v14
	v_add_f16_e32 v14, v39, v18
	v_fma_f16 v18, v40, s12, v47
	v_fma_f16 v39, v8, s12, v50
	;; [unrolled: 1-line block ×6, first 2 shown]
	v_add_f16_e32 v16, v39, v41
	v_add_f16_e32 v47, v8, v13
	v_sub_f16_e32 v50, v14, v40
	v_sub_f16_e32 v8, v13, v8
	v_add_f16_e32 v13, v40, v14
	v_sub_f16_e32 v14, v41, v39
	v_add_f16_e32 v39, v54, v12
	v_add_f16_e32 v40, v35, v9
	v_sub_f16_e32 v9, v35, v9
	v_add_f16_e32 v35, v49, v38
	;; [unrolled: 3-line block ×3, first 2 shown]
	v_sub_f16_e32 v12, v54, v12
	v_sub_f16_e32 v38, v49, v38
	;; [unrolled: 1-line block ×3, first 2 shown]
	v_add_f16_e32 v15, v36, v37
	v_add_f16_e32 v42, v17, v19
	v_sub_f16_e32 v36, v37, v36
	v_sub_f16_e32 v17, v19, v17
	v_add_f16_e32 v19, v35, v39
	v_add_f16_e32 v37, v41, v40
	v_sub_f16_e32 v56, v46, v10
	v_add_f16_e32 v57, v43, v55
	v_add_f16_e32 v10, v10, v46
	v_sub_f16_e32 v43, v55, v43
	v_sub_f16_e32 v46, v35, v39
	;; [unrolled: 1-line block ×7, first 2 shown]
	v_add_f16_e32 v54, v36, v38
	v_add_f16_e32 v55, v17, v11
	v_sub_f16_e32 v58, v36, v38
	v_sub_f16_e32 v59, v17, v11
	v_sub_f16_e32 v38, v38, v12
	v_sub_f16_e32 v11, v11, v9
	v_add_f16_e32 v15, v15, v19
	v_add_f16_e32 v19, v42, v37
	v_sub_f16_e32 v36, v12, v36
	v_sub_f16_e32 v17, v9, v17
	v_add_f16_e32 v12, v54, v12
	v_add_f16_e32 v9, v55, v9
	v_add_f16_e32 v37, v15, v7
	v_add_f16_sdwa v7, v19, v7 dst_sel:DWORD dst_unused:UNUSED_PAD src0_sel:DWORD src1_sel:WORD_1
	v_mul_f16_e32 v39, 0x3a52, v39
	v_mul_f16_e32 v40, 0x3a52, v40
	;; [unrolled: 1-line block ×8, first 2 shown]
	v_fma_f16 v15, v15, s10, v37
	v_fma_f16 v19, v19, s10, v7
	;; [unrolled: 1-line block ×4, first 2 shown]
	v_fma_f16 v42, v46, s7, -v42
	v_fma_f16 v54, v49, s7, -v54
	;; [unrolled: 1-line block ×4, first 2 shown]
	v_fma_f16 v46, v36, s14, v55
	v_fma_f16 v49, v17, s14, v58
	v_fma_f16 v38, v38, s6, -v55
	v_fma_f16 v11, v11, s6, -v58
	v_fma_f16 v36, v36, s15, -v59
	v_fma_f16 v17, v17, s15, -v60
	v_add_f16_e32 v35, v35, v15
	v_add_f16_e32 v41, v41, v19
	;; [unrolled: 1-line block ×6, first 2 shown]
	v_fma_f16 v39, v12, s12, v46
	v_fma_f16 v40, v9, s12, v49
	;; [unrolled: 1-line block ×6, first 2 shown]
	v_add_f16_e32 v17, v40, v35
	v_sub_f16_e32 v36, v41, v39
	v_add_f16_e32 v46, v9, v15
	v_sub_f16_e32 v49, v19, v12
	v_sub_f16_e32 v9, v15, v9
	v_add_f16_e32 v12, v12, v19
	v_sub_f16_e32 v15, v35, v40
	v_add_f16_e32 v19, v39, v41
	v_mul_u32_u24_e32 v35, 0x5e8, v52
	v_lshlrev_b32_sdwa v39, v22, v53 dst_sel:DWORD dst_unused:UNUSED_PAD src0_sel:DWORD src1_sel:BYTE_0
	v_add3_u32 v35, 0, v35, v39
	v_pack_b32_f16 v6, v45, v6
	v_pack_b32_f16 v16, v16, v44
	ds_write2_b32 v35, v6, v16 offset1:54
	v_pack_b32_f16 v6, v47, v50
	v_pack_b32_f16 v16, v56, v57
	ds_write2_b32 v35, v6, v16 offset0:108 offset1:162
	v_pack_b32_f16 v6, v10, v43
	v_pack_b32_f16 v8, v8, v13
	v_add_u32_e32 v10, 0x200, v35
	ds_write2_b32 v10, v6, v8 offset0:88 offset1:142
	v_pack_b32_f16 v6, v14, v18
	ds_write_b32 v35, v6 offset:1296
	v_mul_u32_u24_e32 v6, 0x5e8, v48
	v_lshlrev_b32_sdwa v8, v22, v51 dst_sel:DWORD dst_unused:UNUSED_PAD src0_sel:DWORD src1_sel:BYTE_0
	v_sub_f16_e32 v55, v42, v11
	v_add_f16_e32 v58, v38, v54
	v_add3_u32 v6, 0, v6, v8
	v_pack_b32_f16 v7, v37, v7
	v_pack_b32_f16 v8, v17, v36
	v_add_f16_e32 v11, v11, v42
	v_sub_f16_e32 v38, v54, v38
	ds_write2_b32 v6, v7, v8 offset1:54
	v_pack_b32_f16 v7, v46, v49
	v_pack_b32_f16 v8, v55, v58
	ds_write2_b32 v6, v7, v8 offset0:108 offset1:162
	v_pack_b32_f16 v7, v11, v38
	v_pack_b32_f16 v8, v9, v12
	v_add_u32_e32 v9, 0x200, v6
	ds_write2_b32 v9, v7, v8 offset0:88 offset1:142
	v_pack_b32_f16 v7, v15, v19
	ds_write_b32 v6, v7 offset:1296
	s_and_saveexec_b64 s[4:5], vcc
	s_cbranch_execz .LBB0_25
; %bb.24:
	v_lshrrev_b16_e32 v6, 1, v1
	v_mul_u32_u24_e32 v6, 0x97b5, v6
	v_lshrrev_b32_e32 v6, 20, v6
	v_mul_lo_u16_e32 v6, 54, v6
	v_sub_u16_e32 v12, v1, v6
	v_mul_u32_u24_e32 v6, 6, v12
	v_lshlrev_b32_e32 v13, 2, v6
	global_load_dwordx4 v[6:9], v13, s[8:9] offset:208
	global_load_dwordx2 v[10:11], v13, s[8:9] offset:224
	v_lshrrev_b32_e32 v13, 16, v3
	v_lshl_add_u32 v12, v12, 2, 0
	s_waitcnt vmcnt(1)
	v_mul_f16_sdwa v14, v13, v6 dst_sel:DWORD dst_unused:UNUSED_PAD src0_sel:DWORD src1_sel:WORD_1
	s_waitcnt vmcnt(0)
	v_mul_f16_sdwa v15, v34, v11 dst_sel:DWORD dst_unused:UNUSED_PAD src0_sel:DWORD src1_sel:WORD_1
	v_mul_f16_sdwa v16, v29, v9 dst_sel:DWORD dst_unused:UNUSED_PAD src0_sel:DWORD src1_sel:WORD_1
	;; [unrolled: 1-line block ×11, first 2 shown]
	v_fma_f16 v3, v3, v6, -v14
	v_fma_f16 v14, v33, v11, -v15
	;; [unrolled: 1-line block ×6, first 2 shown]
	v_fma_f16 v11, v34, v11, v22
	v_fma_f16 v6, v13, v6, v35
	;; [unrolled: 1-line block ×6, first 2 shown]
	v_sub_f16_e32 v13, v3, v14
	v_sub_f16_e32 v19, v15, v16
	;; [unrolled: 1-line block ×3, first 2 shown]
	v_add_f16_e32 v25, v6, v11
	v_add_f16_e32 v26, v8, v9
	;; [unrolled: 1-line block ×6, first 2 shown]
	v_sub_f16_e32 v6, v6, v11
	v_sub_f16_e32 v8, v9, v8
	;; [unrolled: 1-line block ×3, first 2 shown]
	v_add_f16_e32 v11, v19, v22
	v_sub_f16_e32 v16, v25, v26
	v_add_f16_e32 v18, v27, v25
	v_add_f16_e32 v29, v15, v3
	v_sub_f16_e32 v9, v13, v19
	v_sub_f16_e32 v10, v19, v22
	;; [unrolled: 1-line block ×7, first 2 shown]
	v_add_f16_e32 v8, v8, v7
	v_sub_f16_e32 v22, v22, v13
	v_sub_f16_e32 v7, v7, v6
	v_add_f16_e32 v11, v11, v13
	v_mul_f16_e32 v13, 0x3a52, v16
	v_add_f16_e32 v16, v26, v18
	v_add_f16_e32 v14, v14, v29
	v_sub_f16_e32 v25, v27, v25
	v_sub_f16_e32 v3, v15, v3
	v_mul_f16_e32 v10, 0xb846, v10
	v_mul_f16_e32 v15, 0x2b26, v17
	;; [unrolled: 1-line block ×5, first 2 shown]
	v_add_f16_e32 v6, v8, v6
	v_mul_f16_e32 v8, 0x3b00, v22
	v_mul_f16_e32 v27, 0x3b00, v7
	v_add_f16_e32 v24, v24, v16
	v_add_f16_e32 v23, v23, v14
	v_fma_f16 v29, v9, s14, v10
	v_fma_f16 v17, v17, s11, v13
	;; [unrolled: 1-line block ×4, first 2 shown]
	v_fma_f16 v8, v9, s15, -v8
	v_fma_f16 v9, v25, s13, -v13
	;; [unrolled: 1-line block ×4, first 2 shown]
	v_fma_f16 v16, v16, s10, v24
	v_fma_f16 v14, v14, s10, v23
	v_fma_f16 v15, v25, s7, -v15
	v_fma_f16 v10, v22, s6, -v10
	;; [unrolled: 1-line block ×4, first 2 shown]
	v_fma_f16 v27, v11, s12, v29
	v_fma_f16 v29, v6, s12, v31
	;; [unrolled: 1-line block ×3, first 2 shown]
	v_add_f16_e32 v9, v9, v16
	v_add_f16_e32 v13, v13, v14
	v_fma_f16 v18, v6, s12, v18
	v_add_f16_e32 v15, v15, v16
	v_fma_f16 v10, v11, s12, v10
	v_fma_f16 v6, v6, s12, v7
	v_add_f16_e32 v3, v3, v14
	v_add_f16_e32 v32, v8, v9
	v_sub_f16_e32 v11, v15, v10
	v_add_f16_e32 v7, v6, v3
	v_add_f16_e32 v10, v10, v15
	v_sub_f16_e32 v3, v3, v6
	v_sub_f16_e32 v6, v9, v8
	v_add_f16_e32 v8, v18, v13
	v_add_f16_e32 v17, v17, v16
	;; [unrolled: 1-line block ×3, first 2 shown]
	v_sub_f16_e32 v33, v13, v18
	v_pack_b32_f16 v6, v8, v6
	v_pack_b32_f16 v3, v3, v10
	v_add_u32_e32 v8, 0x1800, v12
	v_add_f16_e32 v30, v27, v17
	v_sub_f16_e32 v31, v28, v29
	v_sub_f16_e32 v9, v17, v27
	v_add_f16_e32 v13, v29, v28
	ds_write2_b32 v8, v6, v3 offset0:84 offset1:138
	v_pack_b32_f16 v3, v7, v11
	v_pack_b32_f16 v6, v33, v32
	;; [unrolled: 1-line block ×4, first 2 shown]
	v_add_u32_e32 v13, 0x1600, v12
	ds_write2_b32 v8, v3, v6 offset0:192 offset1:246
	v_pack_b32_f16 v3, v31, v30
	ds_write2_b32 v13, v14, v9 offset0:104 offset1:158
	ds_write_b32 v12, v3 offset:7344
.LBB0_25:
	s_or_b64 exec, exec, s[4:5]
	v_mov_b32_e32 v3, 0
	v_lshlrev_b64 v[6:7], 2, v[2:3]
	v_lshlrev_b32_e32 v2, 2, v21
	v_mov_b32_e32 v14, s9
	v_add_co_u32_e32 v6, vcc, s8, v6
	v_lshlrev_b64 v[10:11], 2, v[2:3]
	v_addc_co_u32_e32 v7, vcc, v14, v7, vcc
	v_lshlrev_b32_e32 v2, 2, v1
	v_add_co_u32_e32 v10, vcc, s8, v10
	v_lshlrev_b64 v[1:2], 2, v[2:3]
	v_addc_co_u32_e32 v11, vcc, v14, v11, vcc
	s_waitcnt lgkmcnt(0)
	s_barrier
	global_load_dwordx4 v[6:9], v[6:7], off offset:1504
	v_add_co_u32_e32 v1, vcc, s8, v1
	global_load_dwordx4 v[10:13], v[10:11], off offset:1504
	v_addc_co_u32_e32 v2, vcc, v14, v2, vcc
	global_load_dwordx4 v[14:17], v[1:2], off offset:1504
	ds_read2_b32 v[1:2], v20 offset1:126
	v_add_u32_e32 v31, 0x200, v20
	v_add_u32_e32 v32, 0xa00, v20
	;; [unrolled: 1-line block ×6, first 2 shown]
	ds_read_u16 v37, v20 offset:2018
	ds_read_b32 v38, v20 offset:7056
	ds_read2_b32 v[18:19], v31 offset0:124 offset1:250
	ds_read2_b32 v[21:22], v32 offset0:116 offset1:242
	;; [unrolled: 1-line block ×6, first 2 shown]
	s_waitcnt lgkmcnt(5)
	v_lshrrev_b32_e32 v49, 16, v19
	s_waitcnt lgkmcnt(4)
	v_lshrrev_b32_e32 v50, 16, v21
	;; [unrolled: 2-line block ×5, first 2 shown]
	v_lshrrev_b32_e32 v41, 16, v38
	v_lshrrev_b32_e32 v51, 16, v24
	;; [unrolled: 1-line block ×6, first 2 shown]
	s_movk_i32 s4, 0x3b9c
	s_mov_b32 s7, 0xbb9c
	s_movk_i32 s5, 0x38b4
	s_mov_b32 s8, 0xb8b4
	s_movk_i32 s6, 0x34f2
	v_lshrrev_b32_e32 v39, 16, v1
	v_lshrrev_b32_e32 v40, 16, v2
	;; [unrolled: 1-line block ×3, first 2 shown]
	s_waitcnt vmcnt(0)
	s_barrier
	v_mul_f16_sdwa v53, v6, v49 dst_sel:DWORD dst_unused:UNUSED_PAD src0_sel:WORD_1 src1_sel:DWORD
	v_mul_f16_sdwa v54, v6, v19 dst_sel:DWORD dst_unused:UNUSED_PAD src0_sel:WORD_1 src1_sel:DWORD
	;; [unrolled: 1-line block ×4, first 2 shown]
	v_fma_f16 v19, v6, v19, -v53
	v_fma_f16 v6, v6, v49, v54
	v_fma_f16 v21, v7, v21, -v55
	v_fma_f16 v7, v7, v50, v56
	v_mul_f16_sdwa v49, v37, v10 dst_sel:DWORD dst_unused:UNUSED_PAD src0_sel:DWORD src1_sel:WORD_1
	v_mul_f16_sdwa v50, v10, v27 dst_sel:DWORD dst_unused:UNUSED_PAD src0_sel:WORD_1 src1_sel:DWORD
	v_fma_f16 v27, v10, v27, -v49
	v_fma_f16 v10, v37, v10, v50
	v_mul_f16_sdwa v37, v46, v14 dst_sel:DWORD dst_unused:UNUSED_PAD src0_sel:DWORD src1_sel:WORD_1
	v_fma_f16 v37, v28, v14, -v37
	v_mul_f16_sdwa v28, v28, v14 dst_sel:DWORD dst_unused:UNUSED_PAD src0_sel:DWORD src1_sel:WORD_1
	v_fma_f16 v14, v46, v14, v28
	v_mul_f16_sdwa v28, v47, v15 dst_sel:DWORD dst_unused:UNUSED_PAD src0_sel:DWORD src1_sel:WORD_1
	v_fma_f16 v28, v23, v15, -v28
	v_mul_f16_sdwa v23, v23, v15 dst_sel:DWORD dst_unused:UNUSED_PAD src0_sel:DWORD src1_sel:WORD_1
	;; [unrolled: 4-line block ×3, first 2 shown]
	v_mul_f16_sdwa v57, v8, v51 dst_sel:DWORD dst_unused:UNUSED_PAD src0_sel:WORD_1 src1_sel:DWORD
	v_fma_f16 v16, v48, v16, v30
	v_mul_f16_sdwa v30, v41, v17 dst_sel:DWORD dst_unused:UNUSED_PAD src0_sel:DWORD src1_sel:WORD_1
	v_mul_f16_sdwa v58, v8, v24 dst_sel:DWORD dst_unused:UNUSED_PAD src0_sel:WORD_1 src1_sel:DWORD
	v_mul_f16_sdwa v59, v9, v52 dst_sel:DWORD dst_unused:UNUSED_PAD src0_sel:WORD_1 src1_sel:DWORD
	;; [unrolled: 1-line block ×3, first 2 shown]
	v_fma_f16 v24, v8, v24, -v57
	v_fma_f16 v30, v38, v17, -v30
	v_mul_f16_sdwa v38, v38, v17 dst_sel:DWORD dst_unused:UNUSED_PAD src0_sel:DWORD src1_sel:WORD_1
	v_fma_f16 v8, v8, v51, v58
	v_fma_f16 v25, v9, v25, -v59
	v_fma_f16 v9, v9, v52, v60
	v_mul_f16_sdwa v51, v42, v11 dst_sel:DWORD dst_unused:UNUSED_PAD src0_sel:DWORD src1_sel:WORD_1
	v_mul_f16_sdwa v52, v22, v11 dst_sel:DWORD dst_unused:UNUSED_PAD src0_sel:DWORD src1_sel:WORD_1
	v_fma_f16 v17, v41, v17, v38
	v_add_f16_e32 v41, v21, v24
	v_mul_f16_sdwa v53, v43, v12 dst_sel:DWORD dst_unused:UNUSED_PAD src0_sel:DWORD src1_sel:WORD_1
	v_mul_f16_sdwa v54, v29, v12 dst_sel:DWORD dst_unused:UNUSED_PAD src0_sel:DWORD src1_sel:WORD_1
	;; [unrolled: 1-line block ×4, first 2 shown]
	v_fma_f16 v22, v22, v11, -v51
	v_fma_f16 v11, v42, v11, v52
	v_fma_f16 v41, v41, -0.5, v1
	v_sub_f16_e32 v42, v6, v9
	v_fma_f16 v29, v29, v12, -v53
	v_fma_f16 v12, v43, v12, v54
	v_fma_f16 v26, v26, v13, -v55
	v_fma_f16 v13, v44, v13, v56
	v_fma_f16 v43, v42, s4, v41
	v_sub_f16_e32 v44, v7, v8
	v_sub_f16_e32 v46, v19, v21
	;; [unrolled: 1-line block ×3, first 2 shown]
	v_fma_f16 v41, v42, s7, v41
	v_fma_f16 v43, v44, s5, v43
	v_add_f16_e32 v46, v46, v47
	v_fma_f16 v41, v44, s8, v41
	v_fma_f16 v43, v46, s6, v43
	;; [unrolled: 1-line block ×3, first 2 shown]
	v_add_f16_e32 v46, v19, v25
	v_add_f16_e32 v38, v1, v19
	v_fma_f16 v1, v46, -0.5, v1
	v_add_f16_e32 v38, v38, v21
	v_fma_f16 v46, v44, s7, v1
	v_fma_f16 v1, v44, s4, v1
	v_add_f16_e32 v44, v7, v8
	v_add_f16_e32 v38, v38, v24
	v_sub_f16_e32 v47, v21, v19
	v_sub_f16_e32 v48, v24, v25
	v_fma_f16 v44, v44, -0.5, v39
	v_sub_f16_e32 v19, v19, v25
	v_add_f16_e32 v38, v38, v25
	v_fma_f16 v46, v42, s5, v46
	v_add_f16_e32 v47, v47, v48
	v_fma_f16 v1, v42, s8, v1
	v_fma_f16 v25, v19, s7, v44
	v_sub_f16_e32 v21, v21, v24
	v_fma_f16 v46, v47, s6, v46
	v_fma_f16 v1, v47, s6, v1
	;; [unrolled: 1-line block ×3, first 2 shown]
	v_sub_f16_e32 v25, v6, v7
	v_sub_f16_e32 v47, v9, v8
	v_fma_f16 v44, v19, s4, v44
	v_add_f16_e32 v42, v39, v6
	v_add_f16_e32 v25, v25, v47
	v_fma_f16 v44, v21, s5, v44
	v_add_f16_e32 v42, v42, v7
	v_fma_f16 v24, v25, s6, v24
	v_fma_f16 v25, v25, s6, v44
	v_add_f16_e32 v44, v6, v9
	v_add_f16_e32 v42, v42, v8
	v_fma_f16 v39, v44, -0.5, v39
	v_add_f16_e32 v42, v42, v9
	v_fma_f16 v44, v21, s4, v39
	v_sub_f16_e32 v6, v7, v6
	v_sub_f16_e32 v7, v8, v9
	v_fma_f16 v8, v21, s7, v39
	v_add_f16_e32 v9, v22, v29
	v_fma_f16 v44, v19, s8, v44
	v_add_f16_e32 v6, v6, v7
	v_fma_f16 v8, v19, s5, v8
	v_fma_f16 v9, v9, -0.5, v2
	v_sub_f16_e32 v19, v10, v13
	v_fma_f16 v7, v6, s6, v44
	v_fma_f16 v21, v19, s4, v9
	v_sub_f16_e32 v39, v11, v12
	v_sub_f16_e32 v44, v27, v22
	;; [unrolled: 1-line block ×3, first 2 shown]
	v_fma_f16 v9, v19, s7, v9
	v_fma_f16 v21, v39, s5, v21
	v_add_f16_e32 v44, v44, v47
	v_fma_f16 v9, v39, s8, v9
	v_fma_f16 v6, v6, s6, v8
	v_add_f16_e32 v8, v2, v27
	;; [unrolled: 3-line block ×3, first 2 shown]
	v_add_f16_e32 v8, v8, v22
	v_fma_f16 v2, v44, -0.5, v2
	v_add_f16_e32 v8, v8, v29
	v_fma_f16 v44, v39, s7, v2
	v_sub_f16_e32 v47, v22, v27
	v_sub_f16_e32 v48, v29, v26
	v_fma_f16 v2, v39, s4, v2
	v_add_f16_e32 v39, v11, v12
	v_add_f16_e32 v8, v8, v26
	v_fma_f16 v44, v19, s5, v44
	v_add_f16_e32 v47, v47, v48
	v_fma_f16 v2, v19, s8, v2
	v_fma_f16 v39, v39, -0.5, v40
	v_sub_f16_e32 v26, v27, v26
	v_fma_f16 v44, v47, s6, v44
	v_fma_f16 v2, v47, s6, v2
	;; [unrolled: 1-line block ×3, first 2 shown]
	v_sub_f16_e32 v22, v22, v29
	v_sub_f16_e32 v29, v10, v11
	;; [unrolled: 1-line block ×3, first 2 shown]
	v_fma_f16 v39, v26, s4, v39
	v_add_f16_e32 v19, v40, v10
	v_fma_f16 v27, v22, s8, v27
	v_add_f16_e32 v29, v29, v47
	;; [unrolled: 2-line block ×3, first 2 shown]
	v_fma_f16 v27, v29, s6, v27
	v_fma_f16 v29, v29, s6, v39
	v_add_f16_e32 v39, v10, v13
	v_add_f16_e32 v19, v19, v12
	v_fma_f16 v39, v39, -0.5, v40
	v_add_f16_e32 v19, v19, v13
	v_fma_f16 v40, v22, s4, v39
	v_sub_f16_e32 v10, v11, v10
	v_sub_f16_e32 v11, v12, v13
	v_add_f16_e32 v13, v28, v23
	v_fma_f16 v40, v26, s8, v40
	v_add_f16_e32 v10, v10, v11
	v_fma_f16 v12, v22, s7, v39
	v_fma_f16 v13, v13, -0.5, v18
	v_sub_f16_e32 v22, v14, v17
	v_fma_f16 v11, v10, s6, v40
	v_fma_f16 v12, v26, s5, v12
	;; [unrolled: 1-line block ×3, first 2 shown]
	v_sub_f16_e32 v39, v15, v16
	v_sub_f16_e32 v40, v37, v28
	;; [unrolled: 1-line block ×3, first 2 shown]
	v_fma_f16 v13, v22, s7, v13
	v_fma_f16 v26, v39, s5, v26
	v_add_f16_e32 v40, v40, v47
	v_fma_f16 v13, v39, s8, v13
	v_fma_f16 v10, v10, s6, v12
	v_add_f16_e32 v12, v18, v37
	;; [unrolled: 3-line block ×3, first 2 shown]
	v_add_f16_e32 v12, v12, v28
	v_fma_f16 v18, v40, -0.5, v18
	v_add_f16_e32 v12, v12, v23
	v_fma_f16 v40, v39, s7, v18
	v_fma_f16 v18, v39, s4, v18
	v_add_f16_e32 v39, v15, v16
	v_add_f16_e32 v12, v12, v30
	v_sub_f16_e32 v47, v28, v37
	v_sub_f16_e32 v48, v23, v30
	v_fma_f16 v39, v39, -0.5, v45
	v_sub_f16_e32 v30, v37, v30
	v_fma_f16 v40, v22, s5, v40
	v_add_f16_e32 v47, v47, v48
	v_fma_f16 v18, v22, s8, v18
	v_fma_f16 v37, v30, s7, v39
	v_sub_f16_e32 v23, v28, v23
	v_fma_f16 v40, v47, s6, v40
	v_fma_f16 v18, v47, s6, v18
	;; [unrolled: 1-line block ×3, first 2 shown]
	v_sub_f16_e32 v37, v14, v15
	v_sub_f16_e32 v47, v17, v16
	v_fma_f16 v39, v30, s4, v39
	v_add_f16_e32 v37, v37, v47
	v_fma_f16 v39, v23, s5, v39
	v_add_f16_e32 v22, v45, v14
	v_fma_f16 v28, v37, s6, v28
	v_fma_f16 v37, v37, s6, v39
	v_add_f16_e32 v39, v14, v17
	v_add_f16_e32 v22, v22, v15
	v_fma_f16 v39, v39, -0.5, v45
	v_add_f16_e32 v22, v22, v16
	v_fma_f16 v45, v23, s4, v39
	v_sub_f16_e32 v14, v15, v14
	v_sub_f16_e32 v15, v16, v17
	v_fma_f16 v16, v23, s7, v39
	v_pack_b32_f16 v7, v46, v7
	v_pack_b32_f16 v11, v44, v11
	v_add_f16_e32 v22, v22, v17
	v_fma_f16 v45, v30, s8, v45
	v_add_f16_e32 v14, v14, v15
	v_fma_f16 v16, v30, s5, v16
	v_pack_b32_f16 v1, v1, v6
	v_pack_b32_f16 v6, v41, v25
	ds_write2_b32 v32, v7, v11 offset0:116 offset1:242
	v_pack_b32_f16 v7, v9, v29
	v_fma_f16 v15, v14, s6, v45
	v_fma_f16 v14, v14, s6, v16
	v_pack_b32_f16 v16, v38, v42
	v_pack_b32_f16 v17, v43, v24
	;; [unrolled: 1-line block ×3, first 2 shown]
	ds_write2_b32 v34, v6, v7 offset0:104 offset1:230
	v_pack_b32_f16 v6, v12, v22
	ds_write2_b32 v20, v16, v8 offset1:126
	v_pack_b32_f16 v8, v21, v27
	ds_write2_b32 v31, v6, v17 offset0:124 offset1:250
	v_pack_b32_f16 v6, v26, v28
	ds_write2_b32 v35, v8, v6 offset0:120 offset1:246
	v_pack_b32_f16 v6, v40, v15
	v_pack_b32_f16 v2, v2, v10
	ds_write2_b32 v33, v6, v1 offset0:112 offset1:238
	v_pack_b32_f16 v1, v18, v14
	ds_write2_b32 v36, v2, v1 offset0:108 offset1:234
	v_pack_b32_f16 v1, v13, v37
	ds_write_b32 v20, v1 offset:7056
	s_waitcnt lgkmcnt(0)
	s_barrier
	s_and_saveexec_b64 s[4:5], s[0:1]
	s_cbranch_execz .LBB0_27
; %bb.26:
	v_lshl_add_u32 v8, v0, 2, 0
	v_mov_b32_e32 v1, v3
	ds_read2_b32 v[6:7], v8 offset1:126
	v_mov_b32_e32 v2, s3
	v_add_co_u32_e32 v9, vcc, s2, v4
	v_addc_co_u32_e32 v10, vcc, v2, v5, vcc
	v_lshlrev_b64 v[1:2], 2, v[0:1]
	v_add_co_u32_e32 v1, vcc, v9, v1
	v_addc_co_u32_e32 v2, vcc, v10, v2, vcc
	s_waitcnt lgkmcnt(0)
	global_store_dword v[1:2], v6, off
	v_add_u32_e32 v2, 0x7e, v0
	v_lshlrev_b64 v[1:2], 2, v[2:3]
	v_add_co_u32_e32 v1, vcc, v9, v1
	v_addc_co_u32_e32 v2, vcc, v10, v2, vcc
	global_store_dword v[1:2], v7, off
	v_add_u32_e32 v1, 0x200, v8
	v_add_u32_e32 v2, 0xfc, v0
	ds_read2_b32 v[4:5], v1 offset0:124 offset1:250
	v_lshlrev_b64 v[1:2], 2, v[2:3]
	v_add_co_u32_e32 v1, vcc, v9, v1
	v_addc_co_u32_e32 v2, vcc, v10, v2, vcc
	s_waitcnt lgkmcnt(0)
	global_store_dword v[1:2], v4, off
	v_add_u32_e32 v2, 0x17a, v0
	v_lshlrev_b64 v[1:2], 2, v[2:3]
	v_add_co_u32_e32 v1, vcc, v9, v1
	v_addc_co_u32_e32 v2, vcc, v10, v2, vcc
	global_store_dword v[1:2], v5, off
	v_add_u32_e32 v1, 0x600, v8
	v_add_u32_e32 v2, 0x1f8, v0
	ds_read2_b32 v[4:5], v1 offset0:120 offset1:246
	v_lshlrev_b64 v[1:2], 2, v[2:3]
	v_add_co_u32_e32 v1, vcc, v9, v1
	v_addc_co_u32_e32 v2, vcc, v10, v2, vcc
	s_waitcnt lgkmcnt(0)
	global_store_dword v[1:2], v4, off
	v_add_u32_e32 v2, 0x276, v0
	v_lshlrev_b64 v[1:2], 2, v[2:3]
	v_add_co_u32_e32 v1, vcc, v9, v1
	v_addc_co_u32_e32 v2, vcc, v10, v2, vcc
	global_store_dword v[1:2], v5, off
	v_add_u32_e32 v1, 0xa00, v8
	v_add_u32_e32 v2, 0x2f4, v0
	ds_read2_b32 v[4:5], v1 offset0:116 offset1:242
	v_lshlrev_b64 v[1:2], 2, v[2:3]
	v_add_co_u32_e32 v1, vcc, v9, v1
	v_addc_co_u32_e32 v2, vcc, v10, v2, vcc
	s_waitcnt lgkmcnt(0)
	global_store_dword v[1:2], v4, off
	v_add_u32_e32 v2, 0x372, v0
	v_lshlrev_b64 v[1:2], 2, v[2:3]
	v_add_co_u32_e32 v1, vcc, v9, v1
	v_addc_co_u32_e32 v2, vcc, v10, v2, vcc
	global_store_dword v[1:2], v5, off
	v_add_u32_e32 v1, 0xe00, v8
	v_add_u32_e32 v2, 0x3f0, v0
	ds_read2_b32 v[4:5], v1 offset0:112 offset1:238
	v_lshlrev_b64 v[1:2], 2, v[2:3]
	v_add_co_u32_e32 v1, vcc, v9, v1
	v_addc_co_u32_e32 v2, vcc, v10, v2, vcc
	s_waitcnt lgkmcnt(0)
	global_store_dword v[1:2], v4, off
	v_add_u32_e32 v2, 0x46e, v0
	v_lshlrev_b64 v[1:2], 2, v[2:3]
	v_add_co_u32_e32 v1, vcc, v9, v1
	v_addc_co_u32_e32 v2, vcc, v10, v2, vcc
	global_store_dword v[1:2], v5, off
	v_add_u32_e32 v1, 0x1200, v8
	v_add_u32_e32 v2, 0x4ec, v0
	ds_read2_b32 v[4:5], v1 offset0:108 offset1:234
	v_lshlrev_b64 v[1:2], 2, v[2:3]
	v_add_co_u32_e32 v1, vcc, v9, v1
	v_addc_co_u32_e32 v2, vcc, v10, v2, vcc
	s_waitcnt lgkmcnt(0)
	global_store_dword v[1:2], v4, off
	v_add_u32_e32 v2, 0x56a, v0
	v_lshlrev_b64 v[1:2], 2, v[2:3]
	v_add_co_u32_e32 v1, vcc, v9, v1
	v_addc_co_u32_e32 v2, vcc, v10, v2, vcc
	global_store_dword v[1:2], v5, off
	v_add_u32_e32 v1, 0x1600, v8
	v_add_u32_e32 v2, 0x5e8, v0
	ds_read2_b32 v[4:5], v1 offset0:104 offset1:230
	v_lshlrev_b64 v[1:2], 2, v[2:3]
	v_add_co_u32_e32 v1, vcc, v9, v1
	v_addc_co_u32_e32 v2, vcc, v10, v2, vcc
	s_waitcnt lgkmcnt(0)
	global_store_dword v[1:2], v4, off
	v_add_u32_e32 v2, 0x666, v0
	v_lshlrev_b64 v[1:2], 2, v[2:3]
	ds_read_b32 v4, v8 offset:7056
	v_add_co_u32_e32 v1, vcc, v9, v1
	v_addc_co_u32_e32 v2, vcc, v10, v2, vcc
	global_store_dword v[1:2], v5, off
	v_add_u32_e32 v2, 0x6e4, v0
	v_lshlrev_b64 v[0:1], 2, v[2:3]
	v_add_co_u32_e32 v0, vcc, v9, v0
	v_addc_co_u32_e32 v1, vcc, v10, v1, vcc
	s_waitcnt lgkmcnt(0)
	global_store_dword v[0:1], v4, off
.LBB0_27:
	s_endpgm
	.section	.rodata,"a",@progbits
	.p2align	6, 0x0
	.amdhsa_kernel fft_rtc_fwd_len1890_factors_2_3_3_3_7_5_wgs_126_tpt_126_halfLds_half_ip_CI_unitstride_sbrr_C2R_dirReg
		.amdhsa_group_segment_fixed_size 0
		.amdhsa_private_segment_fixed_size 0
		.amdhsa_kernarg_size 88
		.amdhsa_user_sgpr_count 6
		.amdhsa_user_sgpr_private_segment_buffer 1
		.amdhsa_user_sgpr_dispatch_ptr 0
		.amdhsa_user_sgpr_queue_ptr 0
		.amdhsa_user_sgpr_kernarg_segment_ptr 1
		.amdhsa_user_sgpr_dispatch_id 0
		.amdhsa_user_sgpr_flat_scratch_init 0
		.amdhsa_user_sgpr_private_segment_size 0
		.amdhsa_uses_dynamic_stack 0
		.amdhsa_system_sgpr_private_segment_wavefront_offset 0
		.amdhsa_system_sgpr_workgroup_id_x 1
		.amdhsa_system_sgpr_workgroup_id_y 0
		.amdhsa_system_sgpr_workgroup_id_z 0
		.amdhsa_system_sgpr_workgroup_info 0
		.amdhsa_system_vgpr_workitem_id 0
		.amdhsa_next_free_vgpr 63
		.amdhsa_next_free_sgpr 22
		.amdhsa_reserve_vcc 1
		.amdhsa_reserve_flat_scratch 0
		.amdhsa_float_round_mode_32 0
		.amdhsa_float_round_mode_16_64 0
		.amdhsa_float_denorm_mode_32 3
		.amdhsa_float_denorm_mode_16_64 3
		.amdhsa_dx10_clamp 1
		.amdhsa_ieee_mode 1
		.amdhsa_fp16_overflow 0
		.amdhsa_exception_fp_ieee_invalid_op 0
		.amdhsa_exception_fp_denorm_src 0
		.amdhsa_exception_fp_ieee_div_zero 0
		.amdhsa_exception_fp_ieee_overflow 0
		.amdhsa_exception_fp_ieee_underflow 0
		.amdhsa_exception_fp_ieee_inexact 0
		.amdhsa_exception_int_div_zero 0
	.end_amdhsa_kernel
	.text
.Lfunc_end0:
	.size	fft_rtc_fwd_len1890_factors_2_3_3_3_7_5_wgs_126_tpt_126_halfLds_half_ip_CI_unitstride_sbrr_C2R_dirReg, .Lfunc_end0-fft_rtc_fwd_len1890_factors_2_3_3_3_7_5_wgs_126_tpt_126_halfLds_half_ip_CI_unitstride_sbrr_C2R_dirReg
                                        ; -- End function
	.section	.AMDGPU.csdata,"",@progbits
; Kernel info:
; codeLenInByte = 12780
; NumSgprs: 26
; NumVgprs: 63
; ScratchSize: 0
; MemoryBound: 0
; FloatMode: 240
; IeeeMode: 1
; LDSByteSize: 0 bytes/workgroup (compile time only)
; SGPRBlocks: 3
; VGPRBlocks: 15
; NumSGPRsForWavesPerEU: 26
; NumVGPRsForWavesPerEU: 63
; Occupancy: 4
; WaveLimiterHint : 1
; COMPUTE_PGM_RSRC2:SCRATCH_EN: 0
; COMPUTE_PGM_RSRC2:USER_SGPR: 6
; COMPUTE_PGM_RSRC2:TRAP_HANDLER: 0
; COMPUTE_PGM_RSRC2:TGID_X_EN: 1
; COMPUTE_PGM_RSRC2:TGID_Y_EN: 0
; COMPUTE_PGM_RSRC2:TGID_Z_EN: 0
; COMPUTE_PGM_RSRC2:TIDIG_COMP_CNT: 0
	.type	__hip_cuid_5d75f444e2b5a6a6,@object ; @__hip_cuid_5d75f444e2b5a6a6
	.section	.bss,"aw",@nobits
	.globl	__hip_cuid_5d75f444e2b5a6a6
__hip_cuid_5d75f444e2b5a6a6:
	.byte	0                               ; 0x0
	.size	__hip_cuid_5d75f444e2b5a6a6, 1

	.ident	"AMD clang version 19.0.0git (https://github.com/RadeonOpenCompute/llvm-project roc-6.4.0 25133 c7fe45cf4b819c5991fe208aaa96edf142730f1d)"
	.section	".note.GNU-stack","",@progbits
	.addrsig
	.addrsig_sym __hip_cuid_5d75f444e2b5a6a6
	.amdgpu_metadata
---
amdhsa.kernels:
  - .args:
      - .actual_access:  read_only
        .address_space:  global
        .offset:         0
        .size:           8
        .value_kind:     global_buffer
      - .offset:         8
        .size:           8
        .value_kind:     by_value
      - .actual_access:  read_only
        .address_space:  global
        .offset:         16
        .size:           8
        .value_kind:     global_buffer
      - .actual_access:  read_only
        .address_space:  global
        .offset:         24
        .size:           8
        .value_kind:     global_buffer
      - .offset:         32
        .size:           8
        .value_kind:     by_value
      - .actual_access:  read_only
        .address_space:  global
        .offset:         40
        .size:           8
        .value_kind:     global_buffer
      - .actual_access:  read_only
        .address_space:  global
        .offset:         48
        .size:           8
        .value_kind:     global_buffer
      - .offset:         56
        .size:           4
        .value_kind:     by_value
      - .actual_access:  read_only
        .address_space:  global
        .offset:         64
        .size:           8
        .value_kind:     global_buffer
      - .actual_access:  read_only
        .address_space:  global
        .offset:         72
        .size:           8
        .value_kind:     global_buffer
      - .address_space:  global
        .offset:         80
        .size:           8
        .value_kind:     global_buffer
    .group_segment_fixed_size: 0
    .kernarg_segment_align: 8
    .kernarg_segment_size: 88
    .language:       OpenCL C
    .language_version:
      - 2
      - 0
    .max_flat_workgroup_size: 126
    .name:           fft_rtc_fwd_len1890_factors_2_3_3_3_7_5_wgs_126_tpt_126_halfLds_half_ip_CI_unitstride_sbrr_C2R_dirReg
    .private_segment_fixed_size: 0
    .sgpr_count:     26
    .sgpr_spill_count: 0
    .symbol:         fft_rtc_fwd_len1890_factors_2_3_3_3_7_5_wgs_126_tpt_126_halfLds_half_ip_CI_unitstride_sbrr_C2R_dirReg.kd
    .uniform_work_group_size: 1
    .uses_dynamic_stack: false
    .vgpr_count:     63
    .vgpr_spill_count: 0
    .wavefront_size: 64
amdhsa.target:   amdgcn-amd-amdhsa--gfx906
amdhsa.version:
  - 1
  - 2
...

	.end_amdgpu_metadata
